;; amdgpu-corpus repo=pytorch/pytorch kind=compiled arch=gfx90a opt=O3
	.text
	.amdgcn_target "amdgcn-amd-amdhsa--gfx90a"
	.amdhsa_code_object_version 6
	.section	.text._ZN2at6native12_GLOBAL__N_121max_pool_forward_nhwcIdiEEvPKT_iT0_S6_S6_S6_S6_iiiiiiiiS6_S6_S6_S6_iiPS3_Pl,"axG",@progbits,_ZN2at6native12_GLOBAL__N_121max_pool_forward_nhwcIdiEEvPKT_iT0_S6_S6_S6_S6_iiiiiiiiS6_S6_S6_S6_iiPS3_Pl,comdat
	.globl	_ZN2at6native12_GLOBAL__N_121max_pool_forward_nhwcIdiEEvPKT_iT0_S6_S6_S6_S6_iiiiiiiiS6_S6_S6_S6_iiPS3_Pl ; -- Begin function _ZN2at6native12_GLOBAL__N_121max_pool_forward_nhwcIdiEEvPKT_iT0_S6_S6_S6_S6_iiiiiiiiS6_S6_S6_S6_iiPS3_Pl
	.p2align	8
	.type	_ZN2at6native12_GLOBAL__N_121max_pool_forward_nhwcIdiEEvPKT_iT0_S6_S6_S6_S6_iiiiiiiiS6_S6_S6_S6_iiPS3_Pl,@function
_ZN2at6native12_GLOBAL__N_121max_pool_forward_nhwcIdiEEvPKT_iT0_S6_S6_S6_S6_iiiiiiiiS6_S6_S6_S6_iiPS3_Pl: ; @_ZN2at6native12_GLOBAL__N_121max_pool_forward_nhwcIdiEEvPKT_iT0_S6_S6_S6_S6_iiiiiiiiS6_S6_S6_S6_iiPS3_Pl
; %bb.0:
	s_load_dwordx4 s[0:3], s[4:5], 0x6c
	s_load_dwordx4 s[36:39], s[4:5], 0x48
	v_bfe_u32 v4, v0, 10, 10
	v_bfe_u32 v5, v0, 20, 10
	v_and_b32_e32 v6, 0x3ff, v0
	s_waitcnt lgkmcnt(0)
	s_and_b32 s12, s2, 0xffff
	s_lshr_b32 s58, s2, 16
	s_mul_i32 s13, s12, s39
	s_and_b32 s33, s3, 0xffff
	s_mul_i32 s9, s13, s58
	v_mad_u32_u24 v7, v5, s58, v4
	s_mul_i32 s9, s9, s33
	v_mad_u64_u32 v[0:1], s[2:3], v7, s12, v[6:7]
	v_cmp_gt_u32_e32 vcc, s9, v0
	s_and_saveexec_b64 s[2:3], vcc
	s_cbranch_execz .LBB0_3
; %bb.1:
	s_mul_i32 s14, s58, s12
	s_lshl_b32 s10, s9, 2
	s_mul_i32 s14, s14, s33
	s_add_i32 s10, s10, 0
	v_lshl_add_u32 v1, v0, 3, s10
	s_lshl_b32 s15, s14, 3
	v_mov_b32_e32 v2, 0
	v_lshl_add_u32 v8, v0, 2, 0
	s_lshl_b32 s16, s14, 2
	s_mov_b64 s[10:11], 0
	v_mov_b32_e32 v3, 0xfff00000
.LBB0_2:                                ; =>This Inner Loop Header: Depth=1
	v_add_u32_e32 v0, s14, v0
	v_cmp_le_u32_e32 vcc, s9, v0
	ds_write_b64 v1, v[2:3]
	ds_write_b32 v8, v2
	v_add_u32_e32 v1, s15, v1
	s_or_b64 s[10:11], vcc, s[10:11]
	v_add_u32_e32 v8, s16, v8
	s_andn2_b64 exec, exec, s[10:11]
	s_cbranch_execnz .LBB0_2
.LBB0_3:
	s_or_b64 exec, exec, s[2:3]
	v_cvt_f32_u32_e32 v0, s1
	s_load_dwordx16 s[16:31], s[4:5], 0x8
	s_sub_i32 s2, 0, s1
	s_waitcnt lgkmcnt(0)
	v_rcp_iflag_f32_e32 v0, v0
	s_barrier
	s_add_i32 s3, s20, s1
	s_add_i32 s3, s3, -1
	v_mul_f32_e32 v0, 0x4f7ffffe, v0
	v_cvt_u32_f32_e32 v0, v0
	v_cvt_f32_u32_e32 v1, s16
	v_readfirstlane_b32 s10, v0
	s_mul_i32 s2, s2, s10
	s_mul_hi_u32 s11, s10, s2
	v_cvt_f32_u32_e32 v0, s0
	s_add_i32 s10, s10, s11
	s_mul_hi_u32 s10, s3, s10
	s_mul_i32 s11, s10, s1
	s_sub_i32 s3, s3, s11
	v_rcp_iflag_f32_e32 v0, v0
	s_add_i32 s11, s10, 1
	s_sub_i32 s14, s3, s1
	v_rcp_iflag_f32_e32 v1, v1
	s_cmp_ge_u32 s3, s1
	s_cselect_b32 s10, s11, s10
	s_cselect_b32 s3, s14, s3
	v_mul_f32_e32 v0, 0x4f7ffffe, v0
	s_add_i32 s11, s10, 1
	v_cvt_u32_f32_e32 v0, v0
	s_cmp_ge_u32 s3, s1
	v_mul_f32_e32 v1, 0x4f7ffffe, v1
	s_cselect_b32 s3, s11, s10
	v_cvt_u32_f32_e32 v1, v1
	s_mul_i32 s8, s3, s8
	v_add_u32_e32 v3, s8, v5
	v_readfirstlane_b32 s1, v0
	v_add_u32_e32 v0, s3, v3
	v_min_i32_e32 v34, s20, v0
	v_readfirstlane_b32 s2, v1
	v_cmp_lt_i32_e32 vcc, v3, v34
	s_and_saveexec_b64 s[10:11], vcc
	s_cbranch_execz .LBB0_74
; %bb.4:
	s_sub_i32 s3, 0, s16
	s_mul_i32 s3, s3, s2
	s_mul_hi_u32 s3, s2, s3
	s_add_i32 s2, s2, s3
	s_add_i32 s3, s21, s0
	s_add_i32 s14, s3, -1
	s_sub_i32 s3, 0, s0
	s_mul_i32 s3, s3, s1
	s_mul_hi_u32 s3, s1, s3
	s_mul_hi_u32 s2, s6, s2
	s_add_i32 s1, s1, s3
	s_lshl_b32 s3, s9, 2
	s_add_i32 s15, s3, 0
	s_mul_i32 s3, s2, s16
	s_sub_i32 s3, s6, s3
	s_add_i32 s8, s2, 1
	s_sub_i32 s9, s3, s16
	s_cmp_ge_u32 s3, s16
	s_cselect_b32 s2, s8, s2
	s_cselect_b32 s3, s9, s3
	s_add_i32 s8, s2, 1
	s_cmp_ge_u32 s3, s16
	s_cselect_b32 s2, s8, s2
	s_mul_i32 s3, s2, s16
	s_mul_i32 s2, s2, s12
	v_add_u32_e32 v0, s2, v6
	s_mul_i32 s2, s20, s17
	s_sub_i32 s6, s6, s3
	s_mul_i32 s2, s2, s21
	s_mul_i32 s8, s2, s6
	s_load_dwordx2 s[2:3], s[4:5], 0x0
	s_load_dwordx4 s[40:43], s[4:5], 0x58
	s_mul_i32 s10, s6, s30
	s_ashr_i32 s11, s10, 31
	s_mul_hi_u32 s1, s14, s1
	s_ashr_i32 s9, s8, 31
	s_lshl_b64 s[10:11], s[10:11], 3
	s_waitcnt lgkmcnt(0)
	s_add_u32 s16, s2, s10
	s_mul_i32 s2, s1, s0
	s_addc_u32 s59, s3, s11
	s_sub_i32 s2, s14, s2
	s_add_i32 s3, s1, 1
	s_sub_i32 s4, s2, s0
	s_cmp_ge_u32 s2, s0
	s_cselect_b32 s1, s3, s1
	s_cselect_b32 s2, s4, s2
	s_add_i32 s3, s1, 1
	s_cmp_ge_u32 s2, s0
	s_cselect_b32 s0, s3, s1
	s_mul_i32 s1, s0, s7
	v_add_u32_e32 v2, s1, v4
	v_add_u32_e32 v4, s0, v2
	s_add_i32 s0, s22, -1
	s_add_i32 s2, s23, -1
	s_mul_i32 s60, s0, s28
	s_mul_i32 s61, s2, s29
	s_add_i32 s60, s60, 1
	s_add_i32 s61, s61, 1
	s_max_i32 s2, s22, s23
	s_cmp_lt_i32 s2, 4
	s_mul_i32 s14, s12, s38
	s_cselect_b64 s[2:3], -1, 0
	s_cmp_ge_u32 s14, s17
	s_cselect_b64 s[4:5], -1, 0
	s_max_u32 s62, s28, 1
	v_cvt_f32_u32_e32 v12, s62
	v_min_i32_e32 v35, s21, v4
	v_mul_lo_u32 v4, v0, s31
	v_ashrrev_i32_e32 v5, 31, v4
	v_lshlrev_b64 v[8:9], 3, v[4:5]
	v_add_co_u32_e32 v5, vcc, s16, v8
	v_rcp_iflag_f32_e32 v8, v12
	v_mul_lo_u32 v1, s13, v7
	v_mov_b32_e32 v11, s59
	v_lshlrev_b32_e32 v10, 3, v1
	v_mul_f32_e32 v8, 0x4f7ffffe, v8
	v_cvt_u32_f32_e32 v8, v8
	v_lshlrev_b32_e32 v1, 2, v1
	s_and_b64 s[22:23], s[2:3], s[4:5]
	v_addc_co_u32_e32 v36, vcc, v11, v9, vcc
	v_lshlrev_b32_e32 v9, 3, v6
	v_lshlrev_b32_e32 v6, 2, v6
	s_sub_i32 s4, 0, s62
	v_add3_u32 v38, 0, v1, v6
	v_mul_lo_u32 v1, s4, v8
	v_mul_hi_u32 v1, v8, v1
	v_add_u32_e32 v39, v8, v1
	s_mul_i32 s4, s58, s33
	v_lshlrev_b32_e32 v1, 3, v7
	v_lshl_add_u32 v1, s4, 2, v1
	v_mul_lo_u32 v1, s39, v1
	v_mul_lo_u32 v1, v1, s12
	v_add3_u32 v40, v1, v9, 0
	v_mul_lo_u32 v1, s39, v7
	v_mul_lo_u32 v1, v1, s12
	v_lshlrev_b32_e32 v1, 2, v1
	v_add3_u32 v41, v1, v6, 0
	v_ashrrev_i32_e32 v1, 31, v0
	s_lshl_b64 s[4:5], s[8:9], 3
	v_lshlrev_b64 v[6:7], 3, v[0:1]
	v_mov_b32_e32 v1, s5
	v_add_co_u32_e32 v42, vcc, s4, v6
	v_add3_u32 v37, s15, v10, v9
	s_mul_i32 s64, s38, s31
	v_addc_co_u32_e32 v43, vcc, v1, v7, vcc
	v_mad_u64_u32 v[6:7], s[4:5], s21, v3, v[2:3]
	s_mul_i32 s67, s21, s17
	s_ashr_i32 s15, s14, 31
	v_cmp_lt_i32_e64 s[0:1], v2, v35
	v_cmp_gt_i32_e64 s[2:3], s17, v0
	s_lshl_b32 s63, s29, 1
	s_mul_i32 s64, s64, s12
	s_lshl_b32 s65, s12, 3
	s_lshl_b32 s66, s12, 2
	v_mul_lo_u32 v44, s17, v6
	s_mul_i32 s67, s67, s33
	s_mul_i32 s68, s17, s58
	s_lshl_b64 s[20:21], s[14:15], 3
	s_mov_b64 s[30:31], 0
	v_mov_b32_e32 v6, 0
	v_mov_b32_e32 v7, 0xfff00000
	s_branch .LBB0_6
.LBB0_5:                                ;   in Loop: Header=BB0_6 Depth=1
	s_or_b64 exec, exec, s[34:35]
	v_add_u32_e32 v3, s33, v3
	v_cmp_ge_i32_e32 vcc, v3, v34
	s_or_b64 s[30:31], vcc, s[30:31]
	v_add_u32_e32 v44, s67, v44
	s_andn2_b64 exec, exec, s[30:31]
	s_cbranch_execz .LBB0_74
.LBB0_6:                                ; =>This Loop Header: Depth=1
                                        ;     Child Loop BB0_9 Depth 2
                                        ;       Child Loop BB0_10 Depth 3
                                        ;       Child Loop BB0_63 Depth 3
                                        ;         Child Loop BB0_66 Depth 4
                                        ;           Child Loop BB0_69 Depth 5
                                        ;       Child Loop BB0_73 Depth 3
	s_and_saveexec_b64 s[34:35], s[0:1]
	s_cbranch_execz .LBB0_5
; %bb.7:                                ;   in Loop: Header=BB0_6 Depth=1
	v_mul_lo_u32 v1, v3, s24
	v_subrev_u32_e32 v8, s26, v1
	v_add_u32_e32 v1, s60, v8
	v_min_i32_e32 v45, s18, v1
	s_mov_b64 s[38:39], 0
	v_mov_b32_e32 v10, v44
	v_mov_b32_e32 v46, v2
	s_branch .LBB0_9
.LBB0_8:                                ;   in Loop: Header=BB0_9 Depth=2
	s_or_b64 exec, exec, s[8:9]
	v_add_u32_e32 v46, s58, v46
	v_cmp_ge_i32_e32 vcc, v46, v35
	s_or_b64 s[38:39], vcc, s[38:39]
	v_add_u32_e32 v10, s68, v10
	s_andn2_b64 exec, exec, s[38:39]
	s_cbranch_execz .LBB0_5
.LBB0_9:                                ;   Parent Loop BB0_6 Depth=1
                                        ; =>  This Loop Header: Depth=2
                                        ;       Child Loop BB0_10 Depth 3
                                        ;       Child Loop BB0_63 Depth 3
                                        ;         Child Loop BB0_66 Depth 4
                                        ;           Child Loop BB0_69 Depth 5
                                        ;       Child Loop BB0_73 Depth 3
	v_mul_lo_u32 v1, v46, s25
	v_subrev_u32_e32 v9, s27, v1
	s_mov_b64 s[4:5], 0
	v_mov_b32_e32 v47, v9
.LBB0_10:                               ;   Parent Loop BB0_6 Depth=1
                                        ;     Parent Loop BB0_9 Depth=2
                                        ; =>    This Inner Loop Header: Depth=3
	v_mov_b32_e32 v1, v47
	v_cmp_lt_i32_e32 vcc, -1, v1
	s_or_b64 s[4:5], vcc, s[4:5]
	v_add_u32_e32 v47, s29, v1
	s_andn2_b64 exec, exec, s[4:5]
	s_cbranch_execnz .LBB0_10
; %bb.11:                               ;   in Loop: Header=BB0_9 Depth=2
	s_or_b64 exec, exec, s[4:5]
	v_lshrrev_b32_e32 v12, 31, v8
	v_max_i32_e32 v11, 0, v8
	v_add_u32_e32 v13, v8, v12
	v_sub_u32_e32 v11, v11, v13
	v_mul_hi_u32 v13, v11, v39
	v_mul_lo_u32 v14, v13, s62
	v_sub_u32_e32 v11, v11, v14
	v_add_u32_e32 v14, 1, v13
	v_cmp_le_u32_e32 vcc, s62, v11
	v_cndmask_b32_e32 v13, v13, v14, vcc
	v_subrev_u32_e32 v14, s62, v11
	v_cndmask_b32_e32 v11, v11, v14, vcc
	v_add_u32_e32 v14, 1, v13
	v_cmp_le_u32_e32 vcc, s62, v11
	v_cndmask_b32_e32 v11, v13, v14, vcc
	v_add_u32_e32 v9, s61, v9
	v_add_u32_e32 v12, v12, v11
	v_min_i32_e32 v11, s19, v9
	v_mad_u64_u32 v[8:9], s[4:5], v12, s28, v[8:9]
	v_cmp_lt_i32_e64 s[4:5], v8, v45
	s_mov_b64 s[6:7], -1
	s_and_b64 vcc, exec, s[22:23]
	s_cbranch_vccnz .LBB0_14
; %bb.12:                               ;   in Loop: Header=BB0_9 Depth=2
	s_and_b64 vcc, exec, s[6:7]
	s_cbranch_vccnz .LBB0_60
.LBB0_13:                               ;   in Loop: Header=BB0_9 Depth=2
	s_and_saveexec_b64 s[8:9], s[2:3]
	s_cbranch_execz .LBB0_8
	s_branch .LBB0_72
.LBB0_14:                               ;   in Loop: Header=BB0_9 Depth=2
	v_mul_lo_u32 v12, v8, s36
	v_ashrrev_i32_e32 v13, 31, v12
	v_lshlrev_b64 v[12:13], 3, v[12:13]
	v_add_co_u32_e32 v16, vcc, v5, v12
	v_addc_co_u32_e32 v17, vcc, v36, v13, vcc
	v_cmp_lt_i32_e32 vcc, v1, v11
	s_and_b64 s[6:7], s[4:5], vcc
	v_pk_mov_b32 v[12:13], 0, 0
	v_mul_lo_u32 v28, v1, s37
	s_and_b64 s[44:45], s[2:3], s[6:7]
	v_ashrrev_i32_e32 v29, 31, v28
	v_pk_mov_b32 v[18:19], v[12:13], v[12:13] op_sel:[0,1]
	s_and_saveexec_b64 s[8:9], s[44:45]
	s_cbranch_execz .LBB0_16
; %bb.15:                               ;   in Loop: Header=BB0_9 Depth=2
	v_lshlrev_b64 v[14:15], 3, v[28:29]
	v_add_co_u32_e64 v14, s[6:7], v16, v14
	v_addc_co_u32_e64 v15, s[6:7], v17, v15, s[6:7]
	global_load_dwordx2 v[18:19], v[14:15], off
.LBB0_16:                               ;   in Loop: Header=BB0_9 Depth=2
	s_or_b64 exec, exec, s[8:9]
	v_cmp_lt_i32_e64 s[6:7], v47, v11
	s_and_b64 s[8:9], s[4:5], s[6:7]
	v_mul_lo_u32 v30, v47, s37
	s_and_b64 s[46:47], s[2:3], s[8:9]
	v_ashrrev_i32_e32 v31, 31, v30
	s_and_saveexec_b64 s[10:11], s[46:47]
	s_cbranch_execz .LBB0_18
; %bb.17:                               ;   in Loop: Header=BB0_9 Depth=2
	v_lshlrev_b64 v[12:13], 3, v[30:31]
	v_add_co_u32_e64 v12, s[8:9], v16, v12
	v_addc_co_u32_e64 v13, s[8:9], v17, v13, s[8:9]
	global_load_dwordx2 v[12:13], v[12:13], off
.LBB0_18:                               ;   in Loop: Header=BB0_9 Depth=2
	s_or_b64 exec, exec, s[10:11]
	v_add_u32_e32 v9, s63, v1
	v_cmp_lt_i32_e64 s[8:9], v9, v11
	s_and_b64 s[10:11], s[4:5], s[8:9]
	v_pk_mov_b32 v[14:15], 0, 0
	v_mul_lo_u32 v32, v9, s37
	s_and_b64 s[48:49], s[2:3], s[10:11]
	v_ashrrev_i32_e32 v33, 31, v32
	v_pk_mov_b32 v[22:23], v[14:15], v[14:15] op_sel:[0,1]
	s_and_saveexec_b64 s[12:13], s[48:49]
	s_cbranch_execz .LBB0_20
; %bb.19:                               ;   in Loop: Header=BB0_9 Depth=2
	v_lshlrev_b64 v[20:21], 3, v[32:33]
	v_add_co_u32_e64 v16, s[10:11], v16, v20
	v_addc_co_u32_e64 v17, s[10:11], v17, v21, s[10:11]
	global_load_dwordx2 v[22:23], v[16:17], off
.LBB0_20:                               ;   in Loop: Header=BB0_9 Depth=2
	s_or_b64 exec, exec, s[12:13]
	v_add_u32_e32 v48, s28, v8
	v_mul_lo_u32 v16, v48, s36
	v_ashrrev_i32_e32 v17, 31, v16
	v_lshlrev_b64 v[16:17], 3, v[16:17]
	v_add_co_u32_e64 v20, s[12:13], v5, v16
	v_cmp_lt_i32_e64 s[10:11], v48, v45
	v_addc_co_u32_e64 v21, s[12:13], v36, v17, s[12:13]
	s_and_b64 s[12:13], s[10:11], vcc
	s_and_b64 s[50:51], s[2:3], s[12:13]
	s_and_saveexec_b64 s[52:53], s[50:51]
	s_cbranch_execz .LBB0_22
; %bb.21:                               ;   in Loop: Header=BB0_9 Depth=2
	v_lshlrev_b64 v[14:15], 3, v[28:29]
	v_add_co_u32_e64 v14, s[12:13], v20, v14
	v_addc_co_u32_e64 v15, s[12:13], v21, v15, s[12:13]
	global_load_dwordx2 v[14:15], v[14:15], off
.LBB0_22:                               ;   in Loop: Header=BB0_9 Depth=2
	s_or_b64 exec, exec, s[52:53]
	s_and_b64 s[12:13], s[10:11], s[6:7]
	v_pk_mov_b32 v[16:17], 0, 0
	s_and_b64 s[52:53], s[2:3], s[12:13]
	v_pk_mov_b32 v[24:25], v[16:17], v[16:17] op_sel:[0,1]
	s_and_saveexec_b64 s[54:55], s[52:53]
	s_cbranch_execz .LBB0_24
; %bb.23:                               ;   in Loop: Header=BB0_9 Depth=2
	v_lshlrev_b64 v[24:25], 3, v[30:31]
	v_add_co_u32_e64 v24, s[12:13], v20, v24
	v_addc_co_u32_e64 v25, s[12:13], v21, v25, s[12:13]
	global_load_dwordx2 v[24:25], v[24:25], off
.LBB0_24:                               ;   in Loop: Header=BB0_9 Depth=2
	s_or_b64 exec, exec, s[54:55]
	s_and_b64 s[10:11], s[10:11], s[8:9]
	s_and_b64 s[54:55], s[2:3], s[10:11]
	s_and_saveexec_b64 s[12:13], s[54:55]
	s_cbranch_execz .LBB0_26
; %bb.25:                               ;   in Loop: Header=BB0_9 Depth=2
	v_lshlrev_b64 v[16:17], 3, v[32:33]
	v_add_co_u32_e64 v16, s[10:11], v20, v16
	v_addc_co_u32_e64 v17, s[10:11], v21, v17, s[10:11]
	global_load_dwordx2 v[16:17], v[16:17], off
.LBB0_26:                               ;   in Loop: Header=BB0_9 Depth=2
	s_or_b64 exec, exec, s[12:13]
	v_add_u32_e32 v49, s28, v48
	v_mul_lo_u32 v20, v49, s36
	v_ashrrev_i32_e32 v21, 31, v20
	v_lshlrev_b64 v[20:21], 3, v[20:21]
	v_add_co_u32_e64 v50, s[12:13], v5, v20
	v_cmp_lt_i32_e64 s[10:11], v49, v45
	v_addc_co_u32_e64 v51, s[12:13], v36, v21, s[12:13]
	s_and_b64 s[12:13], s[10:11], vcc
	v_pk_mov_b32 v[20:21], 0, 0
	s_and_b64 s[12:13], s[2:3], s[12:13]
	v_pk_mov_b32 v[26:27], v[20:21], v[20:21] op_sel:[0,1]
	s_and_saveexec_b64 s[56:57], s[12:13]
	s_cbranch_execz .LBB0_28
; %bb.27:                               ;   in Loop: Header=BB0_9 Depth=2
	v_lshlrev_b64 v[26:27], 3, v[28:29]
	v_add_co_u32_e32 v26, vcc, v50, v26
	v_addc_co_u32_e32 v27, vcc, v51, v27, vcc
	global_load_dwordx2 v[26:27], v[26:27], off
.LBB0_28:                               ;   in Loop: Header=BB0_9 Depth=2
	s_or_b64 exec, exec, s[56:57]
	s_and_b64 s[6:7], s[10:11], s[6:7]
	s_and_b64 s[56:57], s[2:3], s[6:7]
	s_and_saveexec_b64 s[6:7], s[56:57]
	s_cbranch_execz .LBB0_30
; %bb.29:                               ;   in Loop: Header=BB0_9 Depth=2
	v_lshlrev_b64 v[20:21], 3, v[30:31]
	v_add_co_u32_e32 v20, vcc, v50, v20
	v_addc_co_u32_e32 v21, vcc, v51, v21, vcc
	global_load_dwordx2 v[20:21], v[20:21], off
.LBB0_30:                               ;   in Loop: Header=BB0_9 Depth=2
	s_or_b64 exec, exec, s[6:7]
	s_and_b64 s[6:7], s[10:11], s[8:9]
	s_and_b64 s[8:9], s[2:3], s[6:7]
	v_pk_mov_b32 v[28:29], 0, 0
	s_and_saveexec_b64 s[6:7], s[8:9]
	s_cbranch_execz .LBB0_32
; %bb.31:                               ;   in Loop: Header=BB0_9 Depth=2
	v_lshlrev_b64 v[28:29], 3, v[32:33]
	v_add_co_u32_e32 v28, vcc, v50, v28
	v_addc_co_u32_e32 v29, vcc, v51, v29, vcc
	global_load_dwordx2 v[28:29], v[28:29], off
.LBB0_32:                               ;   in Loop: Header=BB0_9 Depth=2
	s_or_b64 exec, exec, s[6:7]
	v_mul_lo_u32 v30, v8, s19
	s_and_saveexec_b64 s[10:11], s[44:45]
	s_cbranch_execz .LBB0_35
; %bb.33:                               ;   in Loop: Header=BB0_9 Depth=2
	ds_read_b64 v[32:33], v37
	s_waitcnt vmcnt(0)
	v_cmp_u_f64_e64 s[6:7], v[18:19], v[18:19]
	s_waitcnt lgkmcnt(0)
	v_cmp_gt_f64_e32 vcc, v[18:19], v[32:33]
	s_or_b64 s[6:7], s[6:7], vcc
	s_and_b64 exec, exec, s[6:7]
	s_cbranch_execz .LBB0_35
; %bb.34:                               ;   in Loop: Header=BB0_9 Depth=2
	v_add_u32_e32 v31, v1, v30
	ds_write_b64 v37, v[18:19]
	ds_write_b32 v38, v31
.LBB0_35:                               ;   in Loop: Header=BB0_9 Depth=2
	s_or_b64 exec, exec, s[10:11]
	s_and_saveexec_b64 s[10:11], s[46:47]
	s_cbranch_execz .LBB0_38
; %bb.36:                               ;   in Loop: Header=BB0_9 Depth=2
	s_waitcnt vmcnt(0)
	ds_read_b64 v[18:19], v37
	v_cmp_u_f64_e64 s[6:7], v[12:13], v[12:13]
	s_waitcnt lgkmcnt(0)
	v_cmp_gt_f64_e32 vcc, v[12:13], v[18:19]
	s_or_b64 s[6:7], s[6:7], vcc
	s_and_b64 exec, exec, s[6:7]
	s_cbranch_execz .LBB0_38
; %bb.37:                               ;   in Loop: Header=BB0_9 Depth=2
	v_add_u32_e32 v18, v47, v30
	ds_write_b64 v37, v[12:13]
	ds_write_b32 v38, v18
.LBB0_38:                               ;   in Loop: Header=BB0_9 Depth=2
	s_or_b64 exec, exec, s[10:11]
	s_and_saveexec_b64 s[10:11], s[48:49]
	s_cbranch_execz .LBB0_41
; %bb.39:                               ;   in Loop: Header=BB0_9 Depth=2
	s_waitcnt vmcnt(0)
	ds_read_b64 v[12:13], v37
	v_cmp_u_f64_e64 s[6:7], v[22:23], v[22:23]
	s_waitcnt lgkmcnt(0)
	v_cmp_gt_f64_e32 vcc, v[22:23], v[12:13]
	s_or_b64 s[6:7], s[6:7], vcc
	s_and_b64 exec, exec, s[6:7]
	s_cbranch_execz .LBB0_41
; %bb.40:                               ;   in Loop: Header=BB0_9 Depth=2
	v_add_u32_e32 v12, v9, v30
	ds_write_b64 v37, v[22:23]
	ds_write_b32 v38, v12
.LBB0_41:                               ;   in Loop: Header=BB0_9 Depth=2
	s_or_b64 exec, exec, s[10:11]
	s_waitcnt vmcnt(0)
	v_mul_lo_u32 v12, v48, s19
	s_and_saveexec_b64 s[10:11], s[50:51]
	s_cbranch_execz .LBB0_44
; %bb.42:                               ;   in Loop: Header=BB0_9 Depth=2
	ds_read_b64 v[18:19], v37
	v_cmp_u_f64_e64 s[6:7], v[14:15], v[14:15]
	s_waitcnt lgkmcnt(0)
	v_cmp_gt_f64_e32 vcc, v[14:15], v[18:19]
	s_or_b64 s[6:7], s[6:7], vcc
	s_and_b64 exec, exec, s[6:7]
	s_cbranch_execz .LBB0_44
; %bb.43:                               ;   in Loop: Header=BB0_9 Depth=2
	v_add_u32_e32 v13, v1, v12
	ds_write_b64 v37, v[14:15]
	ds_write_b32 v38, v13
.LBB0_44:                               ;   in Loop: Header=BB0_9 Depth=2
	s_or_b64 exec, exec, s[10:11]
	s_and_saveexec_b64 s[10:11], s[52:53]
	s_cbranch_execz .LBB0_47
; %bb.45:                               ;   in Loop: Header=BB0_9 Depth=2
	ds_read_b64 v[14:15], v37
	v_cmp_u_f64_e64 s[6:7], v[24:25], v[24:25]
	s_waitcnt lgkmcnt(0)
	v_cmp_gt_f64_e32 vcc, v[24:25], v[14:15]
	s_or_b64 s[6:7], s[6:7], vcc
	s_and_b64 exec, exec, s[6:7]
	s_cbranch_execz .LBB0_47
; %bb.46:                               ;   in Loop: Header=BB0_9 Depth=2
	v_add_u32_e32 v13, v47, v12
	ds_write_b64 v37, v[24:25]
	ds_write_b32 v38, v13
.LBB0_47:                               ;   in Loop: Header=BB0_9 Depth=2
	s_or_b64 exec, exec, s[10:11]
	;; [unrolled: 16-line block ×3, first 2 shown]
	v_mul_lo_u32 v12, v49, s19
	s_and_saveexec_b64 s[10:11], s[12:13]
	s_cbranch_execz .LBB0_53
; %bb.51:                               ;   in Loop: Header=BB0_9 Depth=2
	ds_read_b64 v[14:15], v37
	v_cmp_u_f64_e64 s[6:7], v[26:27], v[26:27]
	s_waitcnt lgkmcnt(0)
	v_cmp_gt_f64_e32 vcc, v[26:27], v[14:15]
	s_or_b64 s[6:7], s[6:7], vcc
	s_and_b64 exec, exec, s[6:7]
	s_cbranch_execz .LBB0_53
; %bb.52:                               ;   in Loop: Header=BB0_9 Depth=2
	v_add_u32_e32 v13, v1, v12
	ds_write_b64 v37, v[26:27]
	ds_write_b32 v38, v13
.LBB0_53:                               ;   in Loop: Header=BB0_9 Depth=2
	s_or_b64 exec, exec, s[10:11]
	s_and_saveexec_b64 s[10:11], s[56:57]
	s_cbranch_execz .LBB0_56
; %bb.54:                               ;   in Loop: Header=BB0_9 Depth=2
	ds_read_b64 v[14:15], v37
	v_cmp_u_f64_e64 s[6:7], v[20:21], v[20:21]
	s_waitcnt lgkmcnt(0)
	v_cmp_gt_f64_e32 vcc, v[20:21], v[14:15]
	s_or_b64 s[6:7], s[6:7], vcc
	s_and_b64 exec, exec, s[6:7]
	s_cbranch_execz .LBB0_56
; %bb.55:                               ;   in Loop: Header=BB0_9 Depth=2
	v_add_u32_e32 v13, v47, v12
	ds_write_b64 v37, v[20:21]
	ds_write_b32 v38, v13
.LBB0_56:                               ;   in Loop: Header=BB0_9 Depth=2
	s_or_b64 exec, exec, s[10:11]
	;; [unrolled: 16-line block ×3, first 2 shown]
	s_branch .LBB0_13
.LBB0_60:                               ;   in Loop: Header=BB0_9 Depth=2
	s_and_saveexec_b64 s[8:9], s[4:5]
	s_cbranch_execz .LBB0_71
; %bb.61:                               ;   in Loop: Header=BB0_9 Depth=2
	v_cmp_lt_i32_e32 vcc, v1, v11
	s_mov_b64 s[10:11], 0
	v_mov_b32_e32 v9, v8
	s_branch .LBB0_63
.LBB0_62:                               ;   in Loop: Header=BB0_63 Depth=3
	s_or_b64 exec, exec, s[12:13]
	v_add_u32_e32 v9, s28, v9
	v_cmp_ge_i32_e64 s[4:5], v9, v45
	s_or_b64 s[10:11], s[4:5], s[10:11]
	s_andn2_b64 exec, exec, s[10:11]
	s_cbranch_execz .LBB0_71
.LBB0_63:                               ;   Parent Loop BB0_6 Depth=1
                                        ;     Parent Loop BB0_9 Depth=2
                                        ; =>    This Loop Header: Depth=3
                                        ;         Child Loop BB0_66 Depth 4
                                        ;           Child Loop BB0_69 Depth 5
	s_and_saveexec_b64 s[12:13], vcc
	s_cbranch_execz .LBB0_62
; %bb.64:                               ;   in Loop: Header=BB0_63 Depth=3
	v_mul_lo_u32 v12, v9, s36
	v_ashrrev_i32_e32 v13, 31, v12
	v_lshlrev_b64 v[12:13], 3, v[12:13]
	v_mov_b32_e32 v14, s59
	v_add_co_u32_e64 v16, s[4:5], s16, v12
	v_addc_co_u32_e64 v17, s[4:5], v14, v13, s[4:5]
	v_mul_lo_u32 v18, v9, s19
	s_mov_b64 s[44:45], 0
	v_mov_b32_e32 v19, v1
	s_branch .LBB0_66
.LBB0_65:                               ;   in Loop: Header=BB0_66 Depth=4
	s_or_b64 exec, exec, s[46:47]
	v_add_u32_e32 v19, s29, v19
	v_cmp_ge_i32_e64 s[4:5], v19, v11
	s_or_b64 s[44:45], s[4:5], s[44:45]
	s_andn2_b64 exec, exec, s[44:45]
	s_cbranch_execz .LBB0_62
.LBB0_66:                               ;   Parent Loop BB0_6 Depth=1
                                        ;     Parent Loop BB0_9 Depth=2
                                        ;       Parent Loop BB0_63 Depth=3
                                        ; =>      This Loop Header: Depth=4
                                        ;           Child Loop BB0_69 Depth 5
	s_and_saveexec_b64 s[46:47], s[2:3]
	s_cbranch_execz .LBB0_65
; %bb.67:                               ;   in Loop: Header=BB0_66 Depth=4
	v_mul_lo_u32 v12, v19, s37
	v_ashrrev_i32_e32 v13, 31, v12
	v_lshlrev_b64 v[12:13], 3, v[12:13]
	v_add_co_u32_e64 v20, s[4:5], v16, v12
	v_addc_co_u32_e64 v21, s[4:5], v17, v13, s[4:5]
	v_add_u32_e32 v22, v19, v18
	s_mov_b64 s[48:49], 0
	v_mov_b32_e32 v23, v41
	v_mov_b32_e32 v24, v40
	;; [unrolled: 1-line block ×4, first 2 shown]
	s_branch .LBB0_69
.LBB0_68:                               ;   in Loop: Header=BB0_69 Depth=5
	s_or_b64 exec, exec, s[4:5]
	v_add_u32_e32 v25, s14, v25
	v_cmp_le_i32_e64 s[4:5], s17, v25
	v_add_u32_e32 v12, s64, v12
	v_add_u32_e32 v24, s65, v24
	s_or_b64 s[48:49], s[4:5], s[48:49]
	v_add_u32_e32 v23, s66, v23
	s_andn2_b64 exec, exec, s[48:49]
	s_cbranch_execz .LBB0_65
.LBB0_69:                               ;   Parent Loop BB0_6 Depth=1
                                        ;     Parent Loop BB0_9 Depth=2
                                        ;       Parent Loop BB0_63 Depth=3
                                        ;         Parent Loop BB0_66 Depth=4
                                        ; =>        This Inner Loop Header: Depth=5
	v_ashrrev_i32_e32 v13, 31, v12
	v_lshlrev_b64 v[14:15], 3, v[12:13]
	v_add_co_u32_e64 v14, s[4:5], v20, v14
	v_addc_co_u32_e64 v15, s[4:5], v21, v15, s[4:5]
	global_load_dwordx2 v[14:15], v[14:15], off
	ds_read_b64 v[26:27], v24
	s_waitcnt vmcnt(0) lgkmcnt(0)
	v_cmp_gt_f64_e64 s[4:5], v[14:15], v[26:27]
	v_cmp_u_f64_e64 s[6:7], v[14:15], v[14:15]
	s_or_b64 s[6:7], s[6:7], s[4:5]
	s_and_saveexec_b64 s[4:5], s[6:7]
	s_cbranch_execz .LBB0_68
; %bb.70:                               ;   in Loop: Header=BB0_69 Depth=5
	ds_write_b64 v24, v[14:15]
	ds_write_b32 v23, v22
	s_branch .LBB0_68
.LBB0_71:                               ;   in Loop: Header=BB0_9 Depth=2
	s_or_b64 exec, exec, s[8:9]
	s_and_saveexec_b64 s[8:9], s[2:3]
	s_cbranch_execz .LBB0_8
.LBB0_72:                               ;   in Loop: Header=BB0_9 Depth=2
	v_ashrrev_i32_e32 v11, 31, v10
	v_lshlrev_b64 v[12:13], 3, v[10:11]
	v_add_co_u32_e32 v12, vcc, v42, v12
	v_addc_co_u32_e32 v1, vcc, v43, v13, vcc
	s_mov_b64 s[10:11], 0
	v_mov_b32_e32 v9, v41
	v_mov_b32_e32 v11, v40
	;; [unrolled: 1-line block ×3, first 2 shown]
.LBB0_73:                               ;   Parent Loop BB0_6 Depth=1
                                        ;     Parent Loop BB0_9 Depth=2
                                        ; =>    This Inner Loop Header: Depth=3
	ds_read_b32 v16, v9
	ds_read_b64 v[14:15], v11
	v_mov_b32_e32 v17, s41
	v_mov_b32_e32 v19, s43
	v_add_co_u32_e32 v18, vcc, s42, v12
	v_mov_b32_e32 v22, s21
	v_add_co_u32_e64 v20, s[4:5], s40, v12
	v_add_co_u32_e64 v12, s[6:7], s20, v12
	v_add_u32_e32 v13, s14, v13
	v_addc_co_u32_e64 v21, s[4:5], v17, v1, s[4:5]
	v_addc_co_u32_e32 v19, vcc, v19, v1, vcc
	v_addc_co_u32_e64 v1, vcc, v1, v22, s[6:7]
	v_cmp_le_i32_e32 vcc, s17, v13
	ds_write_b64 v11, v[6:7]
	ds_write_b32 v9, v6
	v_add_u32_e32 v11, s65, v11
	v_add_u32_e32 v9, s66, v9
	s_or_b64 s[10:11], vcc, s[10:11]
	s_waitcnt lgkmcnt(3)
	v_ashrrev_i32_e32 v17, 31, v16
	s_waitcnt lgkmcnt(2)
	global_store_dwordx2 v[20:21], v[14:15], off
	global_store_dwordx2 v[18:19], v[16:17], off
	s_andn2_b64 exec, exec, s[10:11]
	s_cbranch_execnz .LBB0_73
	s_branch .LBB0_8
.LBB0_74:
	s_endpgm
	.section	.rodata,"a",@progbits
	.p2align	6, 0x0
	.amdhsa_kernel _ZN2at6native12_GLOBAL__N_121max_pool_forward_nhwcIdiEEvPKT_iT0_S6_S6_S6_S6_iiiiiiiiS6_S6_S6_S6_iiPS3_Pl
		.amdhsa_group_segment_fixed_size 0
		.amdhsa_private_segment_fixed_size 0
		.amdhsa_kernarg_size 360
		.amdhsa_user_sgpr_count 6
		.amdhsa_user_sgpr_private_segment_buffer 1
		.amdhsa_user_sgpr_dispatch_ptr 0
		.amdhsa_user_sgpr_queue_ptr 0
		.amdhsa_user_sgpr_kernarg_segment_ptr 1
		.amdhsa_user_sgpr_dispatch_id 0
		.amdhsa_user_sgpr_flat_scratch_init 0
		.amdhsa_user_sgpr_kernarg_preload_length 0
		.amdhsa_user_sgpr_kernarg_preload_offset 0
		.amdhsa_user_sgpr_private_segment_size 0
		.amdhsa_uses_dynamic_stack 0
		.amdhsa_system_sgpr_private_segment_wavefront_offset 0
		.amdhsa_system_sgpr_workgroup_id_x 1
		.amdhsa_system_sgpr_workgroup_id_y 1
		.amdhsa_system_sgpr_workgroup_id_z 1
		.amdhsa_system_sgpr_workgroup_info 0
		.amdhsa_system_vgpr_workitem_id 2
		.amdhsa_next_free_vgpr 52
		.amdhsa_next_free_sgpr 69
		.amdhsa_accum_offset 52
		.amdhsa_reserve_vcc 1
		.amdhsa_reserve_flat_scratch 0
		.amdhsa_float_round_mode_32 0
		.amdhsa_float_round_mode_16_64 0
		.amdhsa_float_denorm_mode_32 3
		.amdhsa_float_denorm_mode_16_64 3
		.amdhsa_dx10_clamp 1
		.amdhsa_ieee_mode 1
		.amdhsa_fp16_overflow 0
		.amdhsa_tg_split 0
		.amdhsa_exception_fp_ieee_invalid_op 0
		.amdhsa_exception_fp_denorm_src 0
		.amdhsa_exception_fp_ieee_div_zero 0
		.amdhsa_exception_fp_ieee_overflow 0
		.amdhsa_exception_fp_ieee_underflow 0
		.amdhsa_exception_fp_ieee_inexact 0
		.amdhsa_exception_int_div_zero 0
	.end_amdhsa_kernel
	.section	.text._ZN2at6native12_GLOBAL__N_121max_pool_forward_nhwcIdiEEvPKT_iT0_S6_S6_S6_S6_iiiiiiiiS6_S6_S6_S6_iiPS3_Pl,"axG",@progbits,_ZN2at6native12_GLOBAL__N_121max_pool_forward_nhwcIdiEEvPKT_iT0_S6_S6_S6_S6_iiiiiiiiS6_S6_S6_S6_iiPS3_Pl,comdat
.Lfunc_end0:
	.size	_ZN2at6native12_GLOBAL__N_121max_pool_forward_nhwcIdiEEvPKT_iT0_S6_S6_S6_S6_iiiiiiiiS6_S6_S6_S6_iiPS3_Pl, .Lfunc_end0-_ZN2at6native12_GLOBAL__N_121max_pool_forward_nhwcIdiEEvPKT_iT0_S6_S6_S6_S6_iiiiiiiiS6_S6_S6_S6_iiPS3_Pl
                                        ; -- End function
	.section	.AMDGPU.csdata,"",@progbits
; Kernel info:
; codeLenInByte = 3160
; NumSgprs: 73
; NumVgprs: 52
; NumAgprs: 0
; TotalNumVgprs: 52
; ScratchSize: 0
; MemoryBound: 0
; FloatMode: 240
; IeeeMode: 1
; LDSByteSize: 0 bytes/workgroup (compile time only)
; SGPRBlocks: 9
; VGPRBlocks: 6
; NumSGPRsForWavesPerEU: 73
; NumVGPRsForWavesPerEU: 52
; AccumOffset: 52
; Occupancy: 8
; WaveLimiterHint : 1
; COMPUTE_PGM_RSRC2:SCRATCH_EN: 0
; COMPUTE_PGM_RSRC2:USER_SGPR: 6
; COMPUTE_PGM_RSRC2:TRAP_HANDLER: 0
; COMPUTE_PGM_RSRC2:TGID_X_EN: 1
; COMPUTE_PGM_RSRC2:TGID_Y_EN: 1
; COMPUTE_PGM_RSRC2:TGID_Z_EN: 1
; COMPUTE_PGM_RSRC2:TIDIG_COMP_CNT: 2
; COMPUTE_PGM_RSRC3_GFX90A:ACCUM_OFFSET: 12
; COMPUTE_PGM_RSRC3_GFX90A:TG_SPLIT: 0
	.section	.text._ZN2at6native12_GLOBAL__N_121max_pool_forward_nhwcIdlEEvPKT_iT0_S6_S6_S6_S6_iiiiiiiiS6_S6_S6_S6_iiPS3_Pl,"axG",@progbits,_ZN2at6native12_GLOBAL__N_121max_pool_forward_nhwcIdlEEvPKT_iT0_S6_S6_S6_S6_iiiiiiiiS6_S6_S6_S6_iiPS3_Pl,comdat
	.globl	_ZN2at6native12_GLOBAL__N_121max_pool_forward_nhwcIdlEEvPKT_iT0_S6_S6_S6_S6_iiiiiiiiS6_S6_S6_S6_iiPS3_Pl ; -- Begin function _ZN2at6native12_GLOBAL__N_121max_pool_forward_nhwcIdlEEvPKT_iT0_S6_S6_S6_S6_iiiiiiiiS6_S6_S6_S6_iiPS3_Pl
	.p2align	8
	.type	_ZN2at6native12_GLOBAL__N_121max_pool_forward_nhwcIdlEEvPKT_iT0_S6_S6_S6_S6_iiiiiiiiS6_S6_S6_S6_iiPS3_Pl,@function
_ZN2at6native12_GLOBAL__N_121max_pool_forward_nhwcIdlEEvPKT_iT0_S6_S6_S6_S6_iiiiiiiiS6_S6_S6_S6_iiPS3_Pl: ; @_ZN2at6native12_GLOBAL__N_121max_pool_forward_nhwcIdlEEvPKT_iT0_S6_S6_S6_S6_iiiiiiiiS6_S6_S6_S6_iiPS3_Pl
; %bb.0:
	s_load_dwordx4 s[0:3], s[4:5], 0x94
	s_load_dwordx2 s[10:11], s[4:5], 0x78
	v_bfe_u32 v8, v0, 10, 10
	v_bfe_u32 v9, v0, 20, 10
	v_and_b32_e32 v4, 0x3ff, v0
	s_waitcnt lgkmcnt(0)
	s_and_b32 s9, s2, 0xffff
	s_lshr_b32 s62, s2, 16
	s_mul_i32 s14, s9, s11
	s_and_b32 s33, s3, 0xffff
	s_mul_i32 s15, s14, s62
	v_mad_u32_u24 v5, v9, s62, v8
	s_mul_i32 s15, s15, s33
	v_mad_u64_u32 v[0:1], s[2:3], v5, s9, v[4:5]
	v_cmp_gt_u32_e32 vcc, s15, v0
	s_and_saveexec_b64 s[2:3], vcc
	s_cbranch_execz .LBB1_3
; %bb.1:
	s_mul_i32 s16, s62, s9
	s_mul_i32 s16, s16, s33
	v_mov_b32_e32 v2, 0
	s_lshl_b32 s17, s15, 3
	v_lshl_add_u32 v1, v0, 3, 0
	s_lshl_b32 s18, s16, 3
	s_mov_b64 s[12:13], 0
	v_mov_b32_e32 v3, 0xfff00000
	v_mov_b32_e32 v6, v2
	;; [unrolled: 1-line block ×3, first 2 shown]
.LBB1_2:                                ; =>This Inner Loop Header: Depth=1
	v_add_u32_e32 v0, s16, v0
	v_cmp_le_u32_e32 vcc, s15, v0
	v_add_u32_e32 v10, s17, v1
	ds_write_b64 v1, v[6:7]
	v_add_u32_e32 v1, s18, v1
	s_or_b64 s[12:13], vcc, s[12:13]
	ds_write_b64 v10, v[2:3]
	s_andn2_b64 exec, exec, s[12:13]
	s_cbranch_execnz .LBB1_2
.LBB1_3:
	s_or_b64 exec, exec, s[2:3]
	v_cvt_f32_u32_e32 v0, s1
	s_load_dword s2, s[4:5], 0x8
	s_load_dwordx8 s[20:27], s[4:5], 0x10
	s_sub_i32 s12, 0, s1
	s_mov_b32 s19, 0
	v_rcp_iflag_f32_e32 v0, v0
	s_waitcnt lgkmcnt(0)
	v_cvt_f32_u32_e32 v1, s2
	s_add_i32 s3, s26, s1
	s_add_i32 s13, s3, -1
	v_mul_f32_e32 v0, 0x4f7ffffe, v0
	v_cvt_u32_f32_e32 v0, v0
	v_rcp_iflag_f32_e32 v1, v1
	s_barrier
	v_readfirstlane_b32 s16, v0
	s_mul_i32 s12, s12, s16
	s_mul_hi_u32 s12, s16, s12
	v_cvt_f32_u32_e32 v0, s0
	s_add_i32 s16, s16, s12
	s_mul_hi_u32 s12, s13, s16
	s_mul_i32 s16, s12, s1
	s_sub_i32 s13, s13, s16
	v_rcp_iflag_f32_e32 v0, v0
	s_add_i32 s16, s12, 1
	s_sub_i32 s17, s13, s1
	s_cmp_ge_u32 s13, s1
	s_cselect_b32 s12, s16, s12
	s_cselect_b32 s13, s17, s13
	v_mul_f32_e32 v0, 0x4f7ffffe, v0
	s_add_i32 s16, s12, 1
	v_cvt_u32_f32_e32 v0, v0
	s_cmp_ge_u32 s13, s1
	v_mul_f32_e32 v1, 0x4f7ffffe, v1
	s_cselect_b32 s12, s16, s12
	v_cvt_u32_f32_e32 v1, v1
	s_mul_i32 s8, s12, s8
	v_add_u32_e32 v50, s8, v9
	v_readfirstlane_b32 s1, v0
	v_add_u32_e32 v0, s12, v50
	v_min_i32_e32 v51, s26, v0
	v_readfirstlane_b32 s3, v1
	v_cmp_lt_i32_e32 vcc, v50, v51
	s_and_saveexec_b64 s[12:13], vcc
	s_cbranch_execz .LBB1_78
; %bb.4:
	s_sub_i32 s8, 0, s2
	s_mul_i32 s8, s8, s3
	s_load_dwordx2 s[34:35], s[4:5], 0x30
	s_load_dwordx2 s[12:13], s[4:5], 0x0
	s_mul_hi_u32 s8, s3, s8
	s_sub_i32 s16, 0, s0
	s_add_i32 s3, s3, s8
	s_mul_i32 s16, s16, s1
	s_mul_hi_u32 s3, s6, s3
	s_mul_hi_u32 s16, s1, s16
	s_add_i32 s1, s1, s16
	s_mul_i32 s16, s3, s2
	s_waitcnt lgkmcnt(0)
	s_add_i32 s8, s34, s0
	s_lshl_b32 s15, s15, 3
	s_sub_i32 s16, s6, s16
	s_add_i32 s8, s8, -1
	s_add_i32 s15, s15, 0
	s_add_i32 s17, s3, 1
	s_sub_i32 s18, s16, s2
	s_cmp_ge_u32 s16, s2
	s_cselect_b32 s3, s17, s3
	s_load_dwordx8 s[36:43], s[4:5], 0x58
	s_cselect_b32 s16, s18, s16
	s_add_i32 s17, s3, 1
	s_cmp_ge_u32 s16, s2
	s_cselect_b32 s16, s17, s3
	s_mul_i32 s2, s16, s2
	s_sub_i32 s17, s6, s2
	s_ashr_i32 s54, s17, 31
	s_waitcnt lgkmcnt(0)
	s_mul_i32 s2, s17, s37
	s_mul_hi_u32 s3, s17, s36
	s_add_i32 s2, s3, s2
	s_mul_i32 s3, s54, s36
	s_add_i32 s3, s2, s3
	s_mul_i32 s2, s17, s36
	s_mul_hi_u32 s1, s8, s1
	s_lshl_b64 s[2:3], s[2:3], 3
	s_add_u32 s63, s12, s2
	s_mul_i32 s2, s1, s0
	s_addc_u32 s64, s13, s3
	s_sub_i32 s2, s8, s2
	s_add_i32 s3, s1, 1
	s_sub_i32 s6, s2, s0
	s_cmp_ge_u32 s2, s0
	s_cselect_b32 s1, s3, s1
	s_load_dwordx8 s[44:51], s[4:5], 0x38
	s_cselect_b32 s2, s6, s2
	s_add_i32 s3, s1, 1
	s_cmp_ge_u32 s2, s0
	s_cselect_b32 s0, s3, s1
	s_mul_i32 s1, s0, s7
	v_mul_lo_u32 v0, s14, v5
	v_add_u32_e32 v52, s1, v8
	v_lshlrev_b32_e32 v9, 3, v0
	v_add_u32_e32 v0, s0, v52
	s_waitcnt lgkmcnt(0)
	s_add_i32 s0, s44, -1
	s_add_i32 s2, s45, -1
	s_mul_i32 s0, s0, s50
	s_mul_i32 s2, s2, s51
	s_add_i32 s67, s0, 1
	s_add_i32 s71, s2, 1
	s_ashr_i32 s65, s48, 31
	s_ashr_i32 s68, s67, 31
	;; [unrolled: 1-line block ×6, first 2 shown]
	s_max_i32 s2, s44, s45
	s_cmp_lt_i32 s2, 4
	s_mul_i32 s18, s9, s10
	v_pk_mov_b32 v[2:3], s[20:21], s[20:21] op_sel:[0,1]
	s_mov_b32 s36, s50
	s_cselect_b64 s[2:3], -1, 0
	v_cmp_ge_i64_e32 vcc, s[18:19], v[2:3]
	s_and_b64 s[44:45], s[2:3], vcc
	s_ashr_i32 s8, s10, 31
	v_cmp_gt_u64_e64 s[6:7], s[36:37], 1
	s_and_b64 s[6:7], s[6:7], exec
	s_cselect_b32 s75, s37, 0
	s_cselect_b32 s76, s50, 1
	s_add_u32 s6, s49, s51
	s_addc_u32 s7, s69, s73
	s_sub_u32 s52, 0, s6
	s_subb_u32 s53, 0, s7
	s_mul_hi_u32 s6, s38, s10
	s_mul_i32 s7, s38, s8
	s_add_i32 s6, s6, s7
	s_mul_i32 s7, s39, s10
	s_mul_i32 s16, s16, s9
	s_add_i32 s6, s6, s7
	s_mul_i32 s7, s38, s10
	v_min_i32_e32 v53, s34, v0
	v_add_u32_e32 v0, s16, v4
	v_lshlrev_b32_e32 v4, 3, v4
	s_mul_i32 s6, s6, s9
	s_mul_hi_u32 s8, s7, s9
	v_add3_u32 v56, s15, v9, v4
	v_add_u32_e32 v57, 0, v4
	s_add_i32 s77, s8, s6
	s_mul_i32 s6, s62, s33
	v_lshlrev_b32_e32 v4, 3, v5
	v_lshl_add_u32 v4, s6, 3, v4
	v_ashrrev_i32_e32 v1, 31, v0
	s_mul_i32 s78, s7, s9
	v_mul_lo_u32 v4, s11, v4
	s_mul_i32 s6, s34, s27
	s_mul_hi_u32 s7, s34, s26
	s_load_dwordx4 s[28:31], s[4:5], 0x80
	v_mul_lo_u32 v6, v1, s38
	v_mul_lo_u32 v7, v0, s39
	v_mad_u64_u32 v[2:3], s[4:5], v0, s38, 0
	v_mul_lo_u32 v59, v4, s9
	v_mul_lo_u32 v4, s11, v5
	s_add_i32 s6, s7, s6
	s_mul_i32 s7, s35, s26
	s_mul_i32 s8, s34, s26
	v_add3_u32 v3, v3, v7, v6
	s_mul_hi_i32 s19, s9, s10
	s_lshl_b32 s79, s9, 3
	v_mul_lo_u32 v4, v4, s9
	s_add_i32 s6, s6, s7
	s_mul_i32 s7, s8, s54
	s_mul_hi_u32 s9, s8, s17
	v_lshlrev_b64 v[6:7], 3, v[2:3]
	s_add_i32 s7, s9, s7
	s_mul_i32 s6, s6, s17
	v_mov_b32_e32 v8, s64
	v_add_co_u32_e32 v54, vcc, s63, v6
	s_add_i32 s7, s7, s6
	s_mul_i32 s6, s8, s17
	s_mov_b32 s66, s48
	v_cmp_lt_i32_e64 s[0:1], v52, v53
	s_mov_b32 s70, s49
	s_mov_b32 s74, s51
	v_cmp_le_i64_e64 s[2:3], s[20:21], v[0:1]
	v_addc_co_u32_e32 v55, vcc, v8, v7, vcc
	v_cmp_gt_i64_e64 s[4:5], s[20:21], v[0:1]
	v_add_u32_e32 v58, v57, v9
	s_mov_b64 s[48:49], 0
	v_lshlrev_b32_e32 v60, 3, v4
	v_lshlrev_b64 v[4:5], 3, v[0:1]
	s_lshl_b64 s[26:27], s[6:7], 3
	s_lshl_b64 s[38:39], s[18:19], 3
	v_mov_b32_e32 v6, 0
	v_mov_b32_e32 v7, 0xfff00000
	s_branch .LBB1_6
.LBB1_5:                                ;   in Loop: Header=BB1_6 Depth=1
	s_or_b64 exec, exec, s[54:55]
	v_add_u32_e32 v50, s33, v50
	v_cmp_ge_i32_e32 vcc, v50, v51
	s_or_b64 s[48:49], vcc, s[48:49]
	s_andn2_b64 exec, exec, s[48:49]
	s_cbranch_execz .LBB1_78
.LBB1_6:                                ; =>This Loop Header: Depth=1
                                        ;     Child Loop BB1_9 Depth 2
                                        ;       Child Loop BB1_14 Depth 3
                                        ;       Child Loop BB1_67 Depth 3
                                        ;         Child Loop BB1_70 Depth 4
                                        ;           Child Loop BB1_73 Depth 5
                                        ;       Child Loop BB1_77 Depth 3
	s_and_saveexec_b64 s[54:55], s[0:1]
	s_cbranch_execz .LBB1_5
; %bb.7:                                ;   in Loop: Header=BB1_6 Depth=1
	v_ashrrev_i32_e32 v8, 31, v50
	v_mul_lo_u32 v10, s35, v50
	v_mul_lo_u32 v11, s34, v8
	v_mad_u64_u32 v[8:9], s[6:7], s34, v50, 0
	v_add3_u32 v9, v9, v11, v10
	v_mad_i64_i32 v[10:11], s[6:7], v50, s46, 0
	v_mov_b32_e32 v12, s65
	v_subrev_co_u32_e32 v10, vcc, s66, v10
	v_subb_co_u32_e32 v11, vcc, v11, v12, vcc
	v_mov_b32_e32 v13, s68
	v_add_co_u32_e32 v12, vcc, s67, v10
	v_addc_co_u32_e32 v13, vcc, v11, v13, vcc
	v_mov_b32_e32 v14, s23
	v_cmp_gt_i64_e32 vcc, s[22:23], v[12:13]
	v_cndmask_b32_e32 v13, v14, v13, vcc
	v_mov_b32_e32 v14, s22
	v_cndmask_b32_e32 v12, v14, v12, vcc
	s_mov_b64 s[56:57], 0
	v_mov_b32_e32 v14, v52
	s_branch .LBB1_9
.LBB1_8:                                ;   in Loop: Header=BB1_9 Depth=2
	s_or_b64 exec, exec, s[12:13]
	v_add_u32_e32 v14, s62, v14
	v_cmp_ge_i32_e32 vcc, v14, v53
	s_or_b64 s[56:57], vcc, s[56:57]
	s_andn2_b64 exec, exec, s[56:57]
	s_cbranch_execz .LBB1_5
.LBB1_9:                                ;   Parent Loop BB1_6 Depth=1
                                        ; =>  This Loop Header: Depth=2
                                        ;       Child Loop BB1_14 Depth 3
                                        ;       Child Loop BB1_67 Depth 3
                                        ;         Child Loop BB1_70 Depth 4
                                        ;           Child Loop BB1_73 Depth 5
                                        ;       Child Loop BB1_77 Depth 3
	v_cmp_lt_i64_e32 vcc, 0, v[10:11]
	v_lshrrev_b32_e32 v18, 31, v11
	v_cndmask_b32_e32 v16, 0, v11, vcc
	v_cndmask_b32_e32 v15, 0, v10, vcc
	v_add_co_u32_e32 v17, vcc, v10, v18
	v_addc_co_u32_e32 v19, vcc, 0, v11, vcc
	v_sub_co_u32_e32 v15, vcc, v15, v17
	v_subb_co_u32_e32 v16, vcc, v16, v19, vcc
	v_or_b32_e32 v21, s75, v16
	v_mov_b32_e32 v20, v6
	v_cmp_ne_u64_e32 vcc, 0, v[20:21]
                                        ; implicit-def: $vgpr20_vgpr21
	s_and_saveexec_b64 s[6:7], vcc
	s_xor_b64 s[8:9], exec, s[6:7]
	s_cbranch_execz .LBB1_11
; %bb.10:                               ;   in Loop: Header=BB1_9 Depth=2
	v_cvt_f32_u32_e32 v17, s76
	v_cvt_f32_u32_e32 v19, s75
	s_sub_u32 s6, 0, s76
	s_subb_u32 s7, 0, s75
	v_mac_f32_e32 v17, 0x4f800000, v19
	v_rcp_f32_e32 v17, v17
	v_mul_f32_e32 v17, 0x5f7ffffc, v17
	v_mul_f32_e32 v19, 0x2f800000, v17
	v_trunc_f32_e32 v19, v19
	v_mac_f32_e32 v17, 0xcf800000, v19
	v_cvt_u32_f32_e32 v19, v19
	v_cvt_u32_f32_e32 v17, v17
	v_mul_lo_u32 v20, s6, v19
	v_mul_hi_u32 v22, s6, v17
	v_mul_lo_u32 v21, s7, v17
	v_add_u32_e32 v20, v22, v20
	v_mul_lo_u32 v23, s6, v17
	v_add_u32_e32 v20, v20, v21
	v_mul_hi_u32 v22, v17, v23
	v_mul_lo_u32 v24, v17, v20
	v_mul_hi_u32 v21, v17, v20
	v_add_co_u32_e32 v22, vcc, v22, v24
	v_addc_co_u32_e32 v21, vcc, 0, v21, vcc
	v_mul_hi_u32 v25, v19, v23
	v_mul_lo_u32 v23, v19, v23
	v_add_co_u32_e32 v22, vcc, v22, v23
	v_mul_hi_u32 v24, v19, v20
	v_addc_co_u32_e32 v21, vcc, v21, v25, vcc
	v_addc_co_u32_e32 v22, vcc, 0, v24, vcc
	v_mul_lo_u32 v20, v19, v20
	v_add_co_u32_e32 v20, vcc, v21, v20
	v_addc_co_u32_e32 v21, vcc, 0, v22, vcc
	v_add_co_u32_e32 v17, vcc, v17, v20
	v_addc_co_u32_e32 v19, vcc, v19, v21, vcc
	v_mul_lo_u32 v20, s6, v19
	v_mul_hi_u32 v21, s6, v17
	v_add_u32_e32 v20, v21, v20
	v_mul_lo_u32 v21, s7, v17
	v_add_u32_e32 v20, v20, v21
	v_mul_lo_u32 v22, s6, v17
	v_mul_hi_u32 v23, v19, v22
	v_mul_lo_u32 v24, v19, v22
	v_mul_lo_u32 v26, v17, v20
	v_mul_hi_u32 v22, v17, v22
	v_mul_hi_u32 v25, v17, v20
	v_add_co_u32_e32 v22, vcc, v22, v26
	v_addc_co_u32_e32 v25, vcc, 0, v25, vcc
	v_add_co_u32_e32 v22, vcc, v22, v24
	v_mul_hi_u32 v21, v19, v20
	v_addc_co_u32_e32 v22, vcc, v25, v23, vcc
	v_addc_co_u32_e32 v21, vcc, 0, v21, vcc
	v_mul_lo_u32 v20, v19, v20
	v_add_co_u32_e32 v20, vcc, v22, v20
	v_addc_co_u32_e32 v21, vcc, 0, v21, vcc
	v_add_co_u32_e32 v17, vcc, v17, v20
	v_addc_co_u32_e32 v19, vcc, v19, v21, vcc
	v_mad_u64_u32 v[20:21], s[6:7], v15, v19, 0
	v_mul_hi_u32 v22, v15, v17
	v_add_co_u32_e32 v24, vcc, v22, v20
	v_addc_co_u32_e32 v25, vcc, 0, v21, vcc
	v_mad_u64_u32 v[22:23], s[6:7], v16, v17, 0
	v_add_co_u32_e32 v17, vcc, v24, v22
	v_mad_u64_u32 v[20:21], s[6:7], v16, v19, 0
	v_addc_co_u32_e32 v17, vcc, v25, v23, vcc
	v_addc_co_u32_e32 v19, vcc, 0, v21, vcc
	v_add_co_u32_e32 v17, vcc, v17, v20
	v_addc_co_u32_e32 v19, vcc, 0, v19, vcc
	v_mul_lo_u32 v22, s75, v17
	v_mul_lo_u32 v23, s76, v19
	v_mad_u64_u32 v[20:21], s[6:7], s76, v17, 0
	v_add3_u32 v21, v21, v23, v22
	v_sub_u32_e32 v22, v16, v21
	v_mov_b32_e32 v23, s75
	v_sub_co_u32_e32 v15, vcc, v15, v20
	v_subb_co_u32_e64 v20, s[6:7], v22, v23, vcc
	v_subrev_co_u32_e64 v22, s[6:7], s76, v15
	v_subbrev_co_u32_e64 v20, s[6:7], 0, v20, s[6:7]
	v_cmp_le_u32_e64 s[6:7], s75, v20
	v_cndmask_b32_e64 v23, 0, -1, s[6:7]
	v_cmp_le_u32_e64 s[6:7], s76, v22
	v_cndmask_b32_e64 v22, 0, -1, s[6:7]
	v_cmp_eq_u32_e64 s[6:7], s75, v20
	v_cndmask_b32_e64 v20, v23, v22, s[6:7]
	v_add_co_u32_e64 v22, s[6:7], 2, v17
	v_subb_co_u32_e32 v16, vcc, v16, v21, vcc
	v_addc_co_u32_e64 v23, s[6:7], 0, v19, s[6:7]
	v_cmp_le_u32_e32 vcc, s75, v16
	v_add_co_u32_e64 v24, s[6:7], 1, v17
	v_cndmask_b32_e64 v21, 0, -1, vcc
	v_cmp_le_u32_e32 vcc, s76, v15
	v_addc_co_u32_e64 v25, s[6:7], 0, v19, s[6:7]
	v_cndmask_b32_e64 v15, 0, -1, vcc
	v_cmp_eq_u32_e32 vcc, s75, v16
	v_cmp_ne_u32_e64 s[6:7], 0, v20
	v_cndmask_b32_e32 v15, v21, v15, vcc
	v_cndmask_b32_e64 v20, v25, v23, s[6:7]
	v_cmp_ne_u32_e32 vcc, 0, v15
	v_cndmask_b32_e64 v15, v24, v22, s[6:7]
	v_cndmask_b32_e32 v21, v19, v20, vcc
	v_cndmask_b32_e32 v20, v17, v15, vcc
                                        ; implicit-def: $vgpr15
.LBB1_11:                               ;   in Loop: Header=BB1_9 Depth=2
	s_andn2_saveexec_b64 s[6:7], s[8:9]
	s_cbranch_execz .LBB1_13
; %bb.12:                               ;   in Loop: Header=BB1_9 Depth=2
	v_cvt_f32_u32_e32 v16, s76
	s_sub_i32 s8, 0, s76
	v_mov_b32_e32 v21, v6
	v_rcp_iflag_f32_e32 v16, v16
	v_mul_f32_e32 v16, 0x4f7ffffe, v16
	v_cvt_u32_f32_e32 v16, v16
	v_mul_lo_u32 v17, s8, v16
	v_mul_hi_u32 v17, v16, v17
	v_add_u32_e32 v16, v16, v17
	v_mul_hi_u32 v16, v15, v16
	v_mul_lo_u32 v17, v16, s76
	v_sub_u32_e32 v15, v15, v17
	v_add_u32_e32 v19, 1, v16
	v_subrev_u32_e32 v17, s76, v15
	v_cmp_le_u32_e32 vcc, s76, v15
	v_cndmask_b32_e32 v15, v15, v17, vcc
	v_cndmask_b32_e32 v16, v16, v19, vcc
	v_add_u32_e32 v17, 1, v16
	v_cmp_le_u32_e32 vcc, s76, v15
	v_cndmask_b32_e32 v20, v16, v17, vcc
.LBB1_13:                               ;   in Loop: Header=BB1_9 Depth=2
	s_or_b64 exec, exec, s[6:7]
	v_pk_mov_b32 v[16:17], s[52:53], s[52:53] op_sel:[0,1]
	v_mad_i64_i32 v[22:23], s[6:7], s47, v14, 0
	v_mad_i64_i32 v[16:17], s[6:7], s47, v14, v[16:17]
	v_ashrrev_i32_e32 v15, 31, v14
	s_mov_b64 s[6:7], 0
.LBB1_14:                               ;   Parent Loop BB1_6 Depth=1
                                        ;     Parent Loop BB1_9 Depth=2
                                        ; =>    This Inner Loop Header: Depth=3
	v_mov_b32_e32 v19, s73
	v_add_co_u32_e32 v16, vcc, s74, v16
	v_addc_co_u32_e32 v17, vcc, v17, v19, vcc
	v_cmp_lt_i64_e32 vcc, -1, v[16:17]
	s_or_b64 s[6:7], vcc, s[6:7]
	s_andn2_b64 exec, exec, s[6:7]
	s_cbranch_execnz .LBB1_14
; %bb.15:                               ;   in Loop: Header=BB1_9 Depth=2
	s_or_b64 exec, exec, s[6:7]
	v_mov_b32_e32 v19, s69
	v_subrev_co_u32_e32 v22, vcc, s70, v22
	v_subb_co_u32_e32 v19, vcc, v23, v19, vcc
	v_mov_b32_e32 v23, s72
	v_add_co_u32_e32 v22, vcc, s71, v22
	v_addc_co_u32_e32 v23, vcc, v19, v23, vcc
	v_add_co_u32_e32 v20, vcc, v18, v20
	v_addc_co_u32_e32 v21, vcc, 0, v21, vcc
	v_mov_b32_e32 v18, s25
	v_cmp_gt_i64_e32 vcc, s[24:25], v[22:23]
	v_cndmask_b32_e32 v19, v18, v23, vcc
	v_mov_b32_e32 v18, s24
	v_cndmask_b32_e32 v18, v18, v22, vcc
	v_mul_lo_u32 v22, v20, s37
	v_mul_lo_u32 v21, v21, s36
	v_mad_u64_u32 v[10:11], s[6:7], v20, s36, v[10:11]
	v_add3_u32 v11, v21, v11, v22
	s_mov_b64 s[6:7], -1
	s_and_b64 vcc, exec, s[44:45]
	s_cbranch_vccnz .LBB1_18
; %bb.16:                               ;   in Loop: Header=BB1_9 Depth=2
	s_and_b64 vcc, exec, s[6:7]
	s_cbranch_vccnz .LBB1_64
.LBB1_17:                               ;   in Loop: Header=BB1_9 Depth=2
	s_and_saveexec_b64 s[12:13], s[4:5]
	s_cbranch_execz .LBB1_8
	s_branch .LBB1_76
.LBB1_18:                               ;   in Loop: Header=BB1_9 Depth=2
	v_ashrrev_i32_e32 v33, 31, v10
	v_mul_lo_u32 v22, v10, s41
	v_mul_lo_u32 v23, v33, s40
	v_mad_u64_u32 v[20:21], s[6:7], v10, s40, 0
	v_add3_u32 v21, v21, v22, v23
	v_lshlrev_b64 v[20:21], 3, v[20:21]
	v_add_co_u32_e64 v30, s[6:7], v54, v20
	v_mov_b32_e32 v32, v10
	v_addc_co_u32_e64 v31, s[6:7], v55, v21, s[6:7]
	v_ashrrev_i32_e32 v21, 31, v16
	v_mov_b32_e32 v20, v16
	v_cmp_le_i64_e32 vcc, v[12:13], v[32:33]
	v_cmp_le_i64_e64 s[10:11], v[18:19], v[20:21]
	s_or_b64 s[6:7], vcc, s[10:11]
	s_or_b64 s[6:7], s[6:7], s[2:3]
	v_pk_mov_b32 v[26:27], 0, 0
	s_xor_b64 s[6:7], s[6:7], -1
	v_mul_lo_u32 v44, v21, s42
	v_mul_lo_u32 v45, v20, s43
	v_pk_mov_b32 v[36:37], v[26:27], v[26:27] op_sel:[0,1]
	s_and_saveexec_b64 s[8:9], s[6:7]
	s_cbranch_execz .LBB1_20
; %bb.19:                               ;   in Loop: Header=BB1_9 Depth=2
	v_mad_u64_u32 v[22:23], s[6:7], v20, s42, 0
	v_add3_u32 v23, v23, v45, v44
	v_lshlrev_b64 v[22:23], 3, v[22:23]
	v_add_co_u32_e64 v22, s[6:7], v30, v22
	v_addc_co_u32_e64 v23, s[6:7], v31, v23, s[6:7]
	global_load_dwordx2 v[36:37], v[22:23], off
.LBB1_20:                               ;   in Loop: Header=BB1_9 Depth=2
	s_or_b64 exec, exec, s[8:9]
	v_add_u32_e32 v22, s51, v16
	v_ashrrev_i32_e32 v23, 31, v22
	v_cmp_le_i64_e64 s[12:13], v[18:19], v[22:23]
	s_or_b64 s[6:7], vcc, s[12:13]
	s_or_b64 s[6:7], s[6:7], s[2:3]
	s_xor_b64 s[6:7], s[6:7], -1
	v_mul_lo_u32 v61, v23, s42
	v_mul_lo_u32 v62, v22, s43
	s_and_saveexec_b64 s[8:9], s[6:7]
	s_cbranch_execz .LBB1_22
; %bb.21:                               ;   in Loop: Header=BB1_9 Depth=2
	v_mad_u64_u32 v[24:25], s[6:7], v22, s42, 0
	v_add3_u32 v25, v25, v62, v61
	v_lshlrev_b64 v[24:25], 3, v[24:25]
	v_add_co_u32_e64 v24, s[6:7], v30, v24
	v_addc_co_u32_e64 v25, s[6:7], v31, v25, s[6:7]
	global_load_dwordx2 v[26:27], v[24:25], off
.LBB1_22:                               ;   in Loop: Header=BB1_9 Depth=2
	s_or_b64 exec, exec, s[8:9]
	v_add_u32_e32 v24, s51, v22
	v_ashrrev_i32_e32 v25, 31, v24
	v_cmp_le_i64_e64 s[14:15], v[18:19], v[24:25]
	s_or_b64 s[6:7], vcc, s[14:15]
	s_or_b64 s[6:7], s[6:7], s[2:3]
	v_pk_mov_b32 v[28:29], 0, 0
	s_xor_b64 s[6:7], s[6:7], -1
	v_mul_lo_u32 v63, v25, s42
	v_mul_lo_u32 v64, v24, s43
	v_pk_mov_b32 v[38:39], v[28:29], v[28:29] op_sel:[0,1]
	s_and_saveexec_b64 s[8:9], s[6:7]
	s_cbranch_execz .LBB1_24
; %bb.23:                               ;   in Loop: Header=BB1_9 Depth=2
	v_mad_u64_u32 v[34:35], s[6:7], v24, s42, 0
	v_add3_u32 v35, v35, v64, v63
	v_lshlrev_b64 v[34:35], 3, v[34:35]
	v_add_co_u32_e64 v30, s[6:7], v30, v34
	v_addc_co_u32_e64 v31, s[6:7], v31, v35, s[6:7]
	global_load_dwordx2 v[38:39], v[30:31], off
.LBB1_24:                               ;   in Loop: Header=BB1_9 Depth=2
	s_or_b64 exec, exec, s[8:9]
	v_add_u32_e32 v40, s50, v10
	v_ashrrev_i32_e32 v41, 31, v40
	v_mul_lo_u32 v34, v41, s40
	v_mul_lo_u32 v35, v40, s41
	v_mad_u64_u32 v[30:31], s[6:7], v40, s40, 0
	v_add3_u32 v31, v31, v35, v34
	v_lshlrev_b64 v[30:31], 3, v[30:31]
	v_add_co_u32_e64 v34, s[8:9], v54, v30
	v_cmp_le_i64_e64 s[6:7], v[12:13], v[40:41]
	v_addc_co_u32_e64 v35, s[8:9], v55, v31, s[8:9]
	s_or_b64 s[8:9], s[6:7], s[10:11]
	s_or_b64 s[8:9], s[8:9], s[2:3]
	s_xor_b64 s[8:9], s[8:9], -1
	s_and_saveexec_b64 s[16:17], s[8:9]
	s_cbranch_execz .LBB1_26
; %bb.25:                               ;   in Loop: Header=BB1_9 Depth=2
	v_mad_u64_u32 v[28:29], s[8:9], v20, s42, 0
	v_add3_u32 v29, v29, v45, v44
	v_lshlrev_b64 v[28:29], 3, v[28:29]
	v_add_co_u32_e64 v28, s[8:9], v34, v28
	v_addc_co_u32_e64 v29, s[8:9], v35, v29, s[8:9]
	global_load_dwordx2 v[28:29], v[28:29], off
.LBB1_26:                               ;   in Loop: Header=BB1_9 Depth=2
	s_or_b64 exec, exec, s[16:17]
	s_or_b64 s[8:9], s[6:7], s[12:13]
	s_or_b64 s[8:9], s[8:9], s[2:3]
	v_pk_mov_b32 v[30:31], 0, 0
	s_xor_b64 s[8:9], s[8:9], -1
	v_pk_mov_b32 v[42:43], v[30:31], v[30:31] op_sel:[0,1]
	s_and_saveexec_b64 s[16:17], s[8:9]
	s_cbranch_execz .LBB1_28
; %bb.27:                               ;   in Loop: Header=BB1_9 Depth=2
	v_mad_u64_u32 v[42:43], s[8:9], v22, s42, 0
	v_add3_u32 v43, v43, v62, v61
	v_lshlrev_b64 v[42:43], 3, v[42:43]
	v_add_co_u32_e64 v42, s[8:9], v34, v42
	v_addc_co_u32_e64 v43, s[8:9], v35, v43, s[8:9]
	global_load_dwordx2 v[42:43], v[42:43], off
.LBB1_28:                               ;   in Loop: Header=BB1_9 Depth=2
	s_or_b64 exec, exec, s[16:17]
	s_or_b64 s[8:9], s[6:7], s[14:15]
	s_or_b64 s[8:9], s[8:9], s[2:3]
	s_xor_b64 s[8:9], s[8:9], -1
	s_and_saveexec_b64 s[16:17], s[8:9]
	s_cbranch_execz .LBB1_30
; %bb.29:                               ;   in Loop: Header=BB1_9 Depth=2
	v_mad_u64_u32 v[30:31], s[8:9], v24, s42, 0
	v_add3_u32 v31, v31, v64, v63
	v_lshlrev_b64 v[30:31], 3, v[30:31]
	v_add_co_u32_e64 v30, s[8:9], v34, v30
	v_addc_co_u32_e64 v31, s[8:9], v35, v31, s[8:9]
	global_load_dwordx2 v[30:31], v[30:31], off
.LBB1_30:                               ;   in Loop: Header=BB1_9 Depth=2
	s_or_b64 exec, exec, s[16:17]
	v_add_u32_e32 v46, s50, v40
	v_ashrrev_i32_e32 v47, 31, v46
	v_mul_lo_u32 v48, v47, s40
	v_mul_lo_u32 v49, v46, s41
	v_mad_u64_u32 v[34:35], s[8:9], v46, s40, 0
	v_add3_u32 v35, v35, v49, v48
	v_lshlrev_b64 v[34:35], 3, v[34:35]
	v_add_co_u32_e64 v65, s[16:17], v54, v34
	v_cmp_le_i64_e64 s[8:9], v[12:13], v[46:47]
	v_addc_co_u32_e64 v66, s[16:17], v55, v35, s[16:17]
	s_or_b64 s[16:17], s[8:9], s[10:11]
	s_or_b64 s[16:17], s[16:17], s[2:3]
	v_pk_mov_b32 v[34:35], 0, 0
	s_xor_b64 s[16:17], s[16:17], -1
	v_pk_mov_b32 v[48:49], v[34:35], v[34:35] op_sel:[0,1]
	s_and_saveexec_b64 s[58:59], s[16:17]
	s_cbranch_execz .LBB1_32
; %bb.31:                               ;   in Loop: Header=BB1_9 Depth=2
	v_mad_u64_u32 v[48:49], s[16:17], v20, s42, 0
	v_add3_u32 v49, v49, v45, v44
	v_lshlrev_b64 v[44:45], 3, v[48:49]
	v_add_co_u32_e64 v44, s[16:17], v65, v44
	v_addc_co_u32_e64 v45, s[16:17], v66, v45, s[16:17]
	global_load_dwordx2 v[48:49], v[44:45], off
.LBB1_32:                               ;   in Loop: Header=BB1_9 Depth=2
	s_or_b64 exec, exec, s[58:59]
	s_or_b64 s[16:17], s[8:9], s[12:13]
	s_or_b64 s[16:17], s[16:17], s[2:3]
	s_xor_b64 s[16:17], s[16:17], -1
	s_and_saveexec_b64 s[58:59], s[16:17]
	s_cbranch_execz .LBB1_34
; %bb.33:                               ;   in Loop: Header=BB1_9 Depth=2
	v_mad_u64_u32 v[34:35], s[16:17], v22, s42, 0
	v_add3_u32 v35, v35, v62, v61
	v_lshlrev_b64 v[34:35], 3, v[34:35]
	v_add_co_u32_e64 v34, s[16:17], v65, v34
	v_addc_co_u32_e64 v35, s[16:17], v66, v35, s[16:17]
	global_load_dwordx2 v[34:35], v[34:35], off
.LBB1_34:                               ;   in Loop: Header=BB1_9 Depth=2
	s_or_b64 exec, exec, s[58:59]
	s_or_b64 s[16:17], s[8:9], s[14:15]
	s_or_b64 s[16:17], s[16:17], s[2:3]
	s_xor_b64 s[16:17], s[16:17], -1
	v_pk_mov_b32 v[44:45], 0, 0
	s_and_saveexec_b64 s[58:59], s[16:17]
	s_cbranch_execz .LBB1_36
; %bb.35:                               ;   in Loop: Header=BB1_9 Depth=2
	v_mad_u64_u32 v[44:45], s[16:17], v24, s42, 0
	v_add3_u32 v45, v45, v64, v63
	v_lshlrev_b64 v[44:45], 3, v[44:45]
	v_add_co_u32_e64 v44, s[16:17], v65, v44
	v_addc_co_u32_e64 v45, s[16:17], v66, v45, s[16:17]
	global_load_dwordx2 v[44:45], v[44:45], off
.LBB1_36:                               ;   in Loop: Header=BB1_9 Depth=2
	s_or_b64 exec, exec, s[58:59]
	s_or_b64 s[58:59], s[2:3], s[10:11]
	v_mul_lo_u32 v61, v33, s24
	v_mul_lo_u32 v62, v32, s25
	v_mad_u64_u32 v[32:33], s[16:17], v32, s24, 0
	s_or_b64 s[10:11], vcc, s[58:59]
	v_add3_u32 v33, v33, v62, v61
	s_xor_b64 s[10:11], s[10:11], -1
	s_and_saveexec_b64 s[60:61], s[10:11]
	s_cbranch_execz .LBB1_39
; %bb.37:                               ;   in Loop: Header=BB1_9 Depth=2
	ds_read_b64 v[62:63], v56
	s_waitcnt vmcnt(0)
	v_cmp_u_f64_e64 s[16:17], v[36:37], v[36:37]
	s_waitcnt lgkmcnt(0)
	v_cmp_gt_f64_e64 s[10:11], v[36:37], v[62:63]
	s_or_b64 s[10:11], s[16:17], s[10:11]
	s_and_b64 exec, exec, s[10:11]
	s_cbranch_execz .LBB1_39
; %bb.38:                               ;   in Loop: Header=BB1_9 Depth=2
	v_add_co_u32_e64 v62, s[10:11], v32, v20
	v_addc_co_u32_e64 v63, s[10:11], v33, v21, s[10:11]
	ds_write_b64 v56, v[36:37]
	ds_write_b64 v58, v[62:63]
.LBB1_39:                               ;   in Loop: Header=BB1_9 Depth=2
	s_or_b64 exec, exec, s[60:61]
	s_or_b64 s[16:17], s[2:3], s[12:13]
	s_or_b64 s[10:11], vcc, s[16:17]
	s_xor_b64 s[10:11], s[10:11], -1
	s_and_saveexec_b64 s[60:61], s[10:11]
	s_cbranch_execz .LBB1_42
; %bb.40:                               ;   in Loop: Header=BB1_9 Depth=2
	s_waitcnt vmcnt(0)
	ds_read_b64 v[36:37], v56
	v_cmp_u_f64_e64 s[12:13], v[26:27], v[26:27]
	s_waitcnt lgkmcnt(0)
	v_cmp_gt_f64_e64 s[10:11], v[26:27], v[36:37]
	s_or_b64 s[10:11], s[12:13], s[10:11]
	s_and_b64 exec, exec, s[10:11]
	s_cbranch_execz .LBB1_42
; %bb.41:                               ;   in Loop: Header=BB1_9 Depth=2
	v_add_co_u32_e64 v36, s[10:11], v32, v22
	v_addc_co_u32_e64 v37, s[10:11], v33, v23, s[10:11]
	ds_write_b64 v56, v[26:27]
	ds_write_b64 v58, v[36:37]
.LBB1_42:                               ;   in Loop: Header=BB1_9 Depth=2
	s_or_b64 exec, exec, s[60:61]
	s_or_b64 s[12:13], s[2:3], s[14:15]
	s_or_b64 s[10:11], vcc, s[12:13]
	s_xor_b64 s[10:11], s[10:11], -1
	s_and_saveexec_b64 s[14:15], s[10:11]
	s_cbranch_execz .LBB1_45
; %bb.43:                               ;   in Loop: Header=BB1_9 Depth=2
	s_waitcnt vmcnt(0)
	ds_read_b64 v[26:27], v56
	v_cmp_u_f64_e64 s[10:11], v[38:39], v[38:39]
	s_waitcnt lgkmcnt(0)
	v_cmp_gt_f64_e32 vcc, v[38:39], v[26:27]
	s_or_b64 s[10:11], s[10:11], vcc
	s_and_b64 exec, exec, s[10:11]
	s_cbranch_execz .LBB1_45
; %bb.44:                               ;   in Loop: Header=BB1_9 Depth=2
	v_add_co_u32_e32 v26, vcc, v32, v24
	v_addc_co_u32_e32 v27, vcc, v33, v25, vcc
	ds_write_b64 v56, v[38:39]
	ds_write_b64 v58, v[26:27]
.LBB1_45:                               ;   in Loop: Header=BB1_9 Depth=2
	s_or_b64 exec, exec, s[14:15]
	s_waitcnt vmcnt(0)
	v_mad_u64_u32 v[26:27], s[10:11], v40, s24, 0
	v_mul_lo_u32 v32, v41, s24
	v_mul_lo_u32 v33, v40, s25
	s_or_b64 s[10:11], s[6:7], s[58:59]
	v_add3_u32 v27, v27, v33, v32
	s_xor_b64 s[10:11], s[10:11], -1
	s_and_saveexec_b64 s[14:15], s[10:11]
	s_cbranch_execz .LBB1_48
; %bb.46:                               ;   in Loop: Header=BB1_9 Depth=2
	ds_read_b64 v[32:33], v56
	v_cmp_u_f64_e64 s[10:11], v[28:29], v[28:29]
	s_waitcnt lgkmcnt(0)
	v_cmp_gt_f64_e32 vcc, v[28:29], v[32:33]
	s_or_b64 s[10:11], s[10:11], vcc
	s_and_b64 exec, exec, s[10:11]
	s_cbranch_execz .LBB1_48
; %bb.47:                               ;   in Loop: Header=BB1_9 Depth=2
	v_add_co_u32_e32 v32, vcc, v26, v20
	v_addc_co_u32_e32 v33, vcc, v27, v21, vcc
	ds_write_b64 v56, v[28:29]
	ds_write_b64 v58, v[32:33]
.LBB1_48:                               ;   in Loop: Header=BB1_9 Depth=2
	s_or_b64 exec, exec, s[14:15]
	s_or_b64 s[10:11], s[6:7], s[16:17]
	s_xor_b64 s[10:11], s[10:11], -1
	s_and_saveexec_b64 s[14:15], s[10:11]
	s_cbranch_execz .LBB1_51
; %bb.49:                               ;   in Loop: Header=BB1_9 Depth=2
	ds_read_b64 v[28:29], v56
	v_cmp_u_f64_e64 s[10:11], v[42:43], v[42:43]
	s_waitcnt lgkmcnt(0)
	v_cmp_gt_f64_e32 vcc, v[42:43], v[28:29]
	s_or_b64 s[10:11], s[10:11], vcc
	s_and_b64 exec, exec, s[10:11]
	s_cbranch_execz .LBB1_51
; %bb.50:                               ;   in Loop: Header=BB1_9 Depth=2
	v_add_co_u32_e32 v28, vcc, v26, v22
	v_addc_co_u32_e32 v29, vcc, v27, v23, vcc
	ds_write_b64 v56, v[42:43]
	ds_write_b64 v58, v[28:29]
.LBB1_51:                               ;   in Loop: Header=BB1_9 Depth=2
	s_or_b64 exec, exec, s[14:15]
	s_or_b64 s[6:7], s[6:7], s[12:13]
	s_xor_b64 s[6:7], s[6:7], -1
	s_and_saveexec_b64 s[10:11], s[6:7]
	s_cbranch_execz .LBB1_54
; %bb.52:                               ;   in Loop: Header=BB1_9 Depth=2
	ds_read_b64 v[28:29], v56
	v_cmp_u_f64_e64 s[6:7], v[30:31], v[30:31]
	s_waitcnt lgkmcnt(0)
	v_cmp_gt_f64_e32 vcc, v[30:31], v[28:29]
	s_or_b64 s[6:7], s[6:7], vcc
	s_and_b64 exec, exec, s[6:7]
	s_cbranch_execz .LBB1_54
; %bb.53:                               ;   in Loop: Header=BB1_9 Depth=2
	v_add_co_u32_e32 v26, vcc, v26, v24
	v_addc_co_u32_e32 v27, vcc, v27, v25, vcc
	ds_write_b64 v56, v[30:31]
	ds_write_b64 v58, v[26:27]
.LBB1_54:                               ;   in Loop: Header=BB1_9 Depth=2
	s_or_b64 exec, exec, s[10:11]
	v_mad_u64_u32 v[26:27], s[6:7], v46, s24, 0
	v_mul_lo_u32 v28, v47, s24
	v_mul_lo_u32 v29, v46, s25
	s_or_b64 s[6:7], s[8:9], s[58:59]
	v_add3_u32 v27, v27, v29, v28
	s_xor_b64 s[6:7], s[6:7], -1
	s_and_saveexec_b64 s[10:11], s[6:7]
	s_cbranch_execz .LBB1_57
; %bb.55:                               ;   in Loop: Header=BB1_9 Depth=2
	ds_read_b64 v[28:29], v56
	v_cmp_u_f64_e64 s[6:7], v[48:49], v[48:49]
	s_waitcnt lgkmcnt(0)
	v_cmp_gt_f64_e32 vcc, v[48:49], v[28:29]
	s_or_b64 s[6:7], s[6:7], vcc
	s_and_b64 exec, exec, s[6:7]
	s_cbranch_execz .LBB1_57
; %bb.56:                               ;   in Loop: Header=BB1_9 Depth=2
	v_add_co_u32_e32 v20, vcc, v26, v20
	v_addc_co_u32_e32 v21, vcc, v27, v21, vcc
	ds_write_b64 v56, v[48:49]
	ds_write_b64 v58, v[20:21]
.LBB1_57:                               ;   in Loop: Header=BB1_9 Depth=2
	s_or_b64 exec, exec, s[10:11]
	s_or_b64 s[6:7], s[8:9], s[16:17]
	s_xor_b64 s[6:7], s[6:7], -1
	s_and_saveexec_b64 s[10:11], s[6:7]
	s_cbranch_execz .LBB1_60
; %bb.58:                               ;   in Loop: Header=BB1_9 Depth=2
	ds_read_b64 v[20:21], v56
	v_cmp_u_f64_e64 s[6:7], v[34:35], v[34:35]
	s_waitcnt lgkmcnt(0)
	v_cmp_gt_f64_e32 vcc, v[34:35], v[20:21]
	s_or_b64 s[6:7], s[6:7], vcc
	s_and_b64 exec, exec, s[6:7]
	s_cbranch_execz .LBB1_60
; %bb.59:                               ;   in Loop: Header=BB1_9 Depth=2
	v_add_co_u32_e32 v20, vcc, v26, v22
	v_addc_co_u32_e32 v21, vcc, v27, v23, vcc
	ds_write_b64 v56, v[34:35]
	ds_write_b64 v58, v[20:21]
.LBB1_60:                               ;   in Loop: Header=BB1_9 Depth=2
	s_or_b64 exec, exec, s[10:11]
	s_or_b64 s[6:7], s[8:9], s[12:13]
	s_xor_b64 s[6:7], s[6:7], -1
	s_and_saveexec_b64 s[8:9], s[6:7]
	s_cbranch_execz .LBB1_63
; %bb.61:                               ;   in Loop: Header=BB1_9 Depth=2
	ds_read_b64 v[20:21], v56
	v_cmp_u_f64_e64 s[6:7], v[44:45], v[44:45]
	s_waitcnt lgkmcnt(0)
	v_cmp_gt_f64_e32 vcc, v[44:45], v[20:21]
	s_or_b64 s[6:7], s[6:7], vcc
	s_and_b64 exec, exec, s[6:7]
	s_cbranch_execz .LBB1_63
; %bb.62:                               ;   in Loop: Header=BB1_9 Depth=2
	v_add_co_u32_e32 v20, vcc, v26, v24
	v_addc_co_u32_e32 v21, vcc, v27, v25, vcc
	ds_write_b64 v56, v[44:45]
	ds_write_b64 v58, v[20:21]
.LBB1_63:                               ;   in Loop: Header=BB1_9 Depth=2
	s_or_b64 exec, exec, s[8:9]
	s_branch .LBB1_17
.LBB1_64:                               ;   in Loop: Header=BB1_9 Depth=2
	v_cmp_lt_i64_e32 vcc, v[10:11], v[12:13]
	s_and_saveexec_b64 s[10:11], vcc
	s_cbranch_execz .LBB1_75
; %bb.65:                               ;   in Loop: Header=BB1_9 Depth=2
	v_cmp_lt_i64_e32 vcc, v[16:17], v[18:19]
	s_mov_b64 s[12:13], 0
	v_pk_mov_b32 v[20:21], v[10:11], v[10:11] op_sel:[0,1]
	s_branch .LBB1_67
.LBB1_66:                               ;   in Loop: Header=BB1_67 Depth=3
	s_or_b64 exec, exec, s[14:15]
	v_mov_b32_e32 v22, s37
	v_add_co_u32_e64 v20, s[6:7], s36, v20
	v_addc_co_u32_e64 v21, s[6:7], v21, v22, s[6:7]
	v_cmp_ge_i64_e64 s[6:7], v[20:21], v[12:13]
	s_or_b64 s[12:13], s[6:7], s[12:13]
	s_andn2_b64 exec, exec, s[12:13]
	s_cbranch_execz .LBB1_75
.LBB1_67:                               ;   Parent Loop BB1_6 Depth=1
                                        ;     Parent Loop BB1_9 Depth=2
                                        ; =>    This Loop Header: Depth=3
                                        ;         Child Loop BB1_70 Depth 4
                                        ;           Child Loop BB1_73 Depth 5
	s_and_saveexec_b64 s[14:15], vcc
	s_cbranch_execz .LBB1_66
; %bb.68:                               ;   in Loop: Header=BB1_67 Depth=3
	v_mul_lo_u32 v24, v21, s40
	v_mul_lo_u32 v25, v20, s41
	v_mad_u64_u32 v[22:23], s[6:7], v20, s40, 0
	v_add3_u32 v23, v23, v25, v24
	v_lshlrev_b64 v[22:23], 3, v[22:23]
	v_mov_b32_e32 v24, s64
	v_add_co_u32_e64 v34, s[6:7], s63, v22
	v_addc_co_u32_e64 v35, s[6:7], v24, v23, s[6:7]
	v_mul_lo_u32 v24, v21, s24
	v_mul_lo_u32 v25, v20, s25
	v_mad_u64_u32 v[22:23], s[6:7], v20, s24, 0
	v_add3_u32 v23, v23, v25, v24
	s_mov_b64 s[16:17], 0
	v_pk_mov_b32 v[24:25], v[16:17], v[16:17] op_sel:[0,1]
	s_branch .LBB1_70
.LBB1_69:                               ;   in Loop: Header=BB1_70 Depth=4
	s_or_b64 exec, exec, s[58:59]
	v_mov_b32_e32 v26, s73
	v_add_co_u32_e64 v24, s[6:7], s74, v24
	v_addc_co_u32_e64 v25, s[6:7], v25, v26, s[6:7]
	v_cmp_ge_i64_e64 s[6:7], v[24:25], v[18:19]
	s_or_b64 s[16:17], s[6:7], s[16:17]
	s_andn2_b64 exec, exec, s[16:17]
	s_cbranch_execz .LBB1_66
.LBB1_70:                               ;   Parent Loop BB1_6 Depth=1
                                        ;     Parent Loop BB1_9 Depth=2
                                        ;       Parent Loop BB1_67 Depth=3
                                        ; =>      This Loop Header: Depth=4
                                        ;           Child Loop BB1_73 Depth 5
	s_and_saveexec_b64 s[58:59], s[4:5]
	s_cbranch_execz .LBB1_69
; %bb.71:                               ;   in Loop: Header=BB1_70 Depth=4
	v_mul_lo_u32 v28, v25, s42
	v_mul_lo_u32 v29, v24, s43
	v_mad_u64_u32 v[26:27], s[6:7], v24, s42, 0
	v_add3_u32 v27, v27, v29, v28
	v_lshlrev_b64 v[26:27], 3, v[26:27]
	v_add_co_u32_e64 v36, s[6:7], v34, v26
	v_addc_co_u32_e64 v37, s[6:7], v35, v27, s[6:7]
	v_add_co_u32_e64 v26, s[6:7], v24, v22
	v_addc_co_u32_e64 v27, s[6:7], v25, v23, s[6:7]
	s_mov_b64 s[60:61], 0
	v_mov_b32_e32 v38, v57
	v_pk_mov_b32 v[28:29], v[2:3], v[2:3] op_sel:[0,1]
	v_pk_mov_b32 v[30:31], v[0:1], v[0:1] op_sel:[0,1]
	s_branch .LBB1_73
.LBB1_72:                               ;   in Loop: Header=BB1_73 Depth=5
	s_or_b64 exec, exec, s[6:7]
	v_mov_b32_e32 v32, s19
	v_add_co_u32_e64 v30, s[6:7], s18, v30
	v_addc_co_u32_e64 v31, s[6:7], v31, v32, s[6:7]
	v_mov_b32_e32 v32, s77
	v_add_co_u32_e64 v28, s[6:7], s78, v28
	v_addc_co_u32_e64 v29, s[6:7], v29, v32, s[6:7]
	v_cmp_le_i64_e64 s[6:7], s[20:21], v[30:31]
	s_or_b64 s[60:61], s[6:7], s[60:61]
	v_add_u32_e32 v38, s79, v38
	s_andn2_b64 exec, exec, s[60:61]
	s_cbranch_execz .LBB1_69
.LBB1_73:                               ;   Parent Loop BB1_6 Depth=1
                                        ;     Parent Loop BB1_9 Depth=2
                                        ;       Parent Loop BB1_67 Depth=3
                                        ;         Parent Loop BB1_70 Depth=4
                                        ; =>        This Inner Loop Header: Depth=5
	v_lshlrev_b64 v[32:33], 3, v[28:29]
	v_add_co_u32_e64 v32, s[6:7], v36, v32
	v_addc_co_u32_e64 v33, s[6:7], v37, v33, s[6:7]
	global_load_dwordx2 v[32:33], v[32:33], off
	v_add_u32_e32 v39, v38, v59
	ds_read_b64 v[40:41], v39
	s_waitcnt vmcnt(0) lgkmcnt(0)
	v_cmp_gt_f64_e64 s[6:7], v[32:33], v[40:41]
	v_cmp_u_f64_e64 s[8:9], v[32:33], v[32:33]
	s_or_b64 s[8:9], s[8:9], s[6:7]
	s_and_saveexec_b64 s[6:7], s[8:9]
	s_cbranch_execz .LBB1_72
; %bb.74:                               ;   in Loop: Header=BB1_73 Depth=5
	ds_write_b64 v39, v[32:33]
	v_add_u32_e32 v32, v38, v60
	ds_write_b64 v32, v[26:27]
	s_branch .LBB1_72
.LBB1_75:                               ;   in Loop: Header=BB1_9 Depth=2
	s_or_b64 exec, exec, s[10:11]
	s_and_saveexec_b64 s[12:13], s[4:5]
	s_cbranch_execz .LBB1_8
.LBB1_76:                               ;   in Loop: Header=BB1_9 Depth=2
	v_add_co_u32_e32 v16, vcc, v8, v14
	v_addc_co_u32_e32 v17, vcc, v9, v15, vcc
	v_lshlrev_b64 v[16:17], 3, v[16:17]
	v_mov_b32_e32 v15, s27
	v_add_co_u32_e32 v16, vcc, s26, v16
	v_addc_co_u32_e32 v15, vcc, v15, v17, vcc
	v_mul_lo_u32 v15, s20, v15
	v_mul_lo_u32 v18, s21, v16
	v_mad_u64_u32 v[16:17], s[6:7], s20, v16, v[4:5]
	v_add3_u32 v17, v18, v17, v15
	s_mov_b64 s[14:15], 0
	v_mov_b32_e32 v15, v57
	v_pk_mov_b32 v[18:19], v[0:1], v[0:1] op_sel:[0,1]
.LBB1_77:                               ;   Parent Loop BB1_6 Depth=1
                                        ;     Parent Loop BB1_9 Depth=2
                                        ; =>    This Inner Loop Header: Depth=3
	v_add_u32_e32 v30, v15, v59
	v_add_u32_e32 v31, v15, v60
	ds_read_b64 v[26:27], v30
	ds_read_b64 v[28:29], v31
	s_waitcnt lgkmcnt(0)
	v_mov_b32_e32 v21, s29
	v_mov_b32_e32 v32, s31
	v_add_co_u32_e32 v20, vcc, s30, v16
	v_mov_b32_e32 v33, s19
	v_add_co_u32_e64 v18, s[6:7], s18, v18
	v_mov_b32_e32 v34, s39
	v_add_co_u32_e64 v24, s[8:9], s28, v16
	v_add_co_u32_e64 v16, s[10:11], s38, v16
	v_addc_co_u32_e64 v25, s[8:9], v21, v17, s[8:9]
	v_addc_co_u32_e32 v21, vcc, v32, v17, vcc
	v_addc_co_u32_e64 v19, vcc, v19, v33, s[6:7]
	v_addc_co_u32_e64 v17, vcc, v17, v34, s[10:11]
	v_cmp_le_i64_e32 vcc, s[20:21], v[18:19]
	v_add_u32_e32 v15, s79, v15
	s_or_b64 s[14:15], vcc, s[14:15]
	v_mov_b32_e32 v22, v6
	v_mov_b32_e32 v23, v6
	ds_write_b64 v30, v[6:7]
	ds_write_b64 v31, v[22:23]
	global_store_dwordx2 v[24:25], v[26:27], off
	global_store_dwordx2 v[20:21], v[28:29], off
	s_andn2_b64 exec, exec, s[14:15]
	s_cbranch_execnz .LBB1_77
	s_branch .LBB1_8
.LBB1_78:
	s_endpgm
	.section	.rodata,"a",@progbits
	.p2align	6, 0x0
	.amdhsa_kernel _ZN2at6native12_GLOBAL__N_121max_pool_forward_nhwcIdlEEvPKT_iT0_S6_S6_S6_S6_iiiiiiiiS6_S6_S6_S6_iiPS3_Pl
		.amdhsa_group_segment_fixed_size 0
		.amdhsa_private_segment_fixed_size 0
		.amdhsa_kernarg_size 400
		.amdhsa_user_sgpr_count 6
		.amdhsa_user_sgpr_private_segment_buffer 1
		.amdhsa_user_sgpr_dispatch_ptr 0
		.amdhsa_user_sgpr_queue_ptr 0
		.amdhsa_user_sgpr_kernarg_segment_ptr 1
		.amdhsa_user_sgpr_dispatch_id 0
		.amdhsa_user_sgpr_flat_scratch_init 0
		.amdhsa_user_sgpr_kernarg_preload_length 0
		.amdhsa_user_sgpr_kernarg_preload_offset 0
		.amdhsa_user_sgpr_private_segment_size 0
		.amdhsa_uses_dynamic_stack 0
		.amdhsa_system_sgpr_private_segment_wavefront_offset 0
		.amdhsa_system_sgpr_workgroup_id_x 1
		.amdhsa_system_sgpr_workgroup_id_y 1
		.amdhsa_system_sgpr_workgroup_id_z 1
		.amdhsa_system_sgpr_workgroup_info 0
		.amdhsa_system_vgpr_workitem_id 2
		.amdhsa_next_free_vgpr 67
		.amdhsa_next_free_sgpr 80
		.amdhsa_accum_offset 68
		.amdhsa_reserve_vcc 1
		.amdhsa_reserve_flat_scratch 0
		.amdhsa_float_round_mode_32 0
		.amdhsa_float_round_mode_16_64 0
		.amdhsa_float_denorm_mode_32 3
		.amdhsa_float_denorm_mode_16_64 3
		.amdhsa_dx10_clamp 1
		.amdhsa_ieee_mode 1
		.amdhsa_fp16_overflow 0
		.amdhsa_tg_split 0
		.amdhsa_exception_fp_ieee_invalid_op 0
		.amdhsa_exception_fp_denorm_src 0
		.amdhsa_exception_fp_ieee_div_zero 0
		.amdhsa_exception_fp_ieee_overflow 0
		.amdhsa_exception_fp_ieee_underflow 0
		.amdhsa_exception_fp_ieee_inexact 0
		.amdhsa_exception_int_div_zero 0
	.end_amdhsa_kernel
	.section	.text._ZN2at6native12_GLOBAL__N_121max_pool_forward_nhwcIdlEEvPKT_iT0_S6_S6_S6_S6_iiiiiiiiS6_S6_S6_S6_iiPS3_Pl,"axG",@progbits,_ZN2at6native12_GLOBAL__N_121max_pool_forward_nhwcIdlEEvPKT_iT0_S6_S6_S6_S6_iiiiiiiiS6_S6_S6_S6_iiPS3_Pl,comdat
.Lfunc_end1:
	.size	_ZN2at6native12_GLOBAL__N_121max_pool_forward_nhwcIdlEEvPKT_iT0_S6_S6_S6_S6_iiiiiiiiS6_S6_S6_S6_iiPS3_Pl, .Lfunc_end1-_ZN2at6native12_GLOBAL__N_121max_pool_forward_nhwcIdlEEvPKT_iT0_S6_S6_S6_S6_iiiiiiiiS6_S6_S6_S6_iiPS3_Pl
                                        ; -- End function
	.section	.AMDGPU.csdata,"",@progbits
; Kernel info:
; codeLenInByte = 4868
; NumSgprs: 84
; NumVgprs: 67
; NumAgprs: 0
; TotalNumVgprs: 67
; ScratchSize: 0
; MemoryBound: 0
; FloatMode: 240
; IeeeMode: 1
; LDSByteSize: 0 bytes/workgroup (compile time only)
; SGPRBlocks: 10
; VGPRBlocks: 8
; NumSGPRsForWavesPerEU: 84
; NumVGPRsForWavesPerEU: 67
; AccumOffset: 68
; Occupancy: 7
; WaveLimiterHint : 1
; COMPUTE_PGM_RSRC2:SCRATCH_EN: 0
; COMPUTE_PGM_RSRC2:USER_SGPR: 6
; COMPUTE_PGM_RSRC2:TRAP_HANDLER: 0
; COMPUTE_PGM_RSRC2:TGID_X_EN: 1
; COMPUTE_PGM_RSRC2:TGID_Y_EN: 1
; COMPUTE_PGM_RSRC2:TGID_Z_EN: 1
; COMPUTE_PGM_RSRC2:TIDIG_COMP_CNT: 2
; COMPUTE_PGM_RSRC3_GFX90A:ACCUM_OFFSET: 16
; COMPUTE_PGM_RSRC3_GFX90A:TG_SPLIT: 0
	.section	.text._ZN2at6native12_GLOBAL__N_121max_pool_forward_nchwIdiEEvT0_PKT_llliiiiiiiiiiPS4_Pl,"axG",@progbits,_ZN2at6native12_GLOBAL__N_121max_pool_forward_nchwIdiEEvT0_PKT_llliiiiiiiiiiPS4_Pl,comdat
	.globl	_ZN2at6native12_GLOBAL__N_121max_pool_forward_nchwIdiEEvT0_PKT_llliiiiiiiiiiPS4_Pl ; -- Begin function _ZN2at6native12_GLOBAL__N_121max_pool_forward_nchwIdiEEvT0_PKT_llliiiiiiiiiiPS4_Pl
	.p2align	8
	.type	_ZN2at6native12_GLOBAL__N_121max_pool_forward_nchwIdiEEvT0_PKT_llliiiiiiiiiiPS4_Pl,@function
_ZN2at6native12_GLOBAL__N_121max_pool_forward_nchwIdiEEvT0_PKT_llliiiiiiiiiiPS4_Pl: ; @_ZN2at6native12_GLOBAL__N_121max_pool_forward_nchwIdiEEvT0_PKT_llliiiiiiiiiiPS4_Pl
; %bb.0:
	s_load_dword s28, s[4:5], 0x0
	s_load_dword s2, s[4:5], 0x6c
	v_mov_b32_e32 v2, 0
	v_mov_b32_e32 v1, v2
	;; [unrolled: 1-line block ×3, first 2 shown]
	s_waitcnt lgkmcnt(0)
	s_ashr_i32 s29, s28, 31
	s_add_u32 s0, s4, 0x60
	s_addc_u32 s1, s5, 0
	s_and_b32 s2, s2, 0xffff
	v_mad_u64_u32 v[0:1], s[6:7], s2, v3, v[0:1]
	v_cmp_gt_i64_e32 vcc, s[28:29], v[0:1]
	s_and_saveexec_b64 s[6:7], vcc
	s_cbranch_execz .LBB2_15
; %bb.1:
	s_load_dwordx8 s[8:15], s[4:5], 0x28
	s_load_dwordx2 s[6:7], s[4:5], 0x48
	s_load_dwordx8 s[16:23], s[4:5], 0x8
	s_load_dwordx4 s[24:27], s[4:5], 0x50
	s_load_dword s3, s[0:1], 0x0
	s_waitcnt lgkmcnt(0)
	s_abs_i32 s48, s9
	v_cvt_f32_u32_e32 v3, s48
	s_abs_i32 s54, s8
	v_cvt_f32_u32_e32 v4, s54
	s_add_i32 s0, s10, -1
	v_rcp_iflag_f32_e32 v3, v3
	s_mul_i32 s33, s0, s6
	s_add_i32 s0, s11, -1
	v_rcp_iflag_f32_e32 v4, v4
	v_mul_f32_e32 v3, 0x4f7ffffe, v3
	v_cvt_u32_f32_e32 v3, v3
	s_mul_i32 s49, s0, s7
	s_sub_i32 s0, 0, s48
	s_max_u32 s52, s6, 1
	v_mul_lo_u32 v5, s0, v3
	v_mul_hi_u32 v5, v3, v5
	v_add_u32_e32 v9, v3, v5
	v_mul_f32_e32 v3, 0x4f7ffffe, v4
	v_cvt_f32_u32_e32 v4, s52
	s_max_u32 s53, s7, 1
	v_cvt_f32_u32_e32 v6, s53
	v_cvt_u32_f32_e32 v3, v3
	v_rcp_iflag_f32_e32 v4, v4
	s_sub_i32 s0, 0, s54
	v_rcp_iflag_f32_e32 v6, v6
	v_mul_lo_u32 v5, s0, v3
	v_mul_f32_e32 v4, 0x4f7ffffe, v4
	v_mul_hi_u32 v5, v3, v5
	v_cvt_u32_f32_e32 v4, v4
	v_add_u32_e32 v14, v3, v5
	v_mul_f32_e32 v5, 0x4f7ffffe, v6
	v_cvt_u32_f32_e32 v5, v5
	s_sub_i32 s0, 0, s52
	v_mul_lo_u32 v3, s0, v4
	v_mul_hi_u32 v3, v4, v3
	s_sub_i32 s0, 0, s53
	v_add_u32_e32 v15, v4, v3
	v_mul_lo_u32 v3, s0, v5
	s_mul_i32 s0, s22, s21
	s_mul_hi_u32 s1, s22, s20
	s_add_i32 s0, s1, s0
	s_mul_i32 s1, s23, s20
	s_add_i32 s1, s0, s1
	s_mul_i32 s0, s22, s20
	s_lshl_b64 s[10:11], s[0:1], 3
	s_ashr_i32 s0, s6, 31
	s_mul_hi_u32 s1, s22, s6
	s_mul_i32 s0, s22, s0
	s_add_i32 s0, s1, s0
	s_mul_i32 s1, s23, s6
	v_mul_hi_u32 v3, v5, v3
	s_add_i32 s31, s0, s1
	s_mul_i32 s30, s6, s22
	s_ashr_i32 s1, s7, 31
	s_mov_b32 s0, s7
	s_add_i32 s33, s33, 1
	s_add_i32 s49, s49, 1
	s_mul_i32 s50, s3, s2
	s_mov_b32 s51, 0
	s_ashr_i32 s55, s9, 31
	s_ashr_i32 s56, s8, 31
	v_add_u32_e32 v16, v5, v3
	s_sub_i32 s21, 0, s14
	s_sub_i32 s57, 0, s15
	s_lshl_b64 s[34:35], s[30:31], 3
	s_lshl_b64 s[36:37], s[0:1], 3
	s_mov_b64 s[38:39], 0
	s_branch .LBB2_4
.LBB2_2:                                ;   in Loop: Header=BB2_4 Depth=1
	s_or_b64 exec, exec, s[42:43]
.LBB2_3:                                ;   in Loop: Header=BB2_4 Depth=1
	s_or_b64 exec, exec, s[40:41]
	v_ashrrev_i32_e32 v5, 31, v0
	v_mov_b32_e32 v4, v0
	v_lshlrev_b64 v[4:5], 3, v[4:5]
	v_mov_b32_e32 v3, s25
	v_add_co_u32_e32 v12, vcc, s24, v4
	v_addc_co_u32_e32 v13, vcc, v3, v5, vcc
	v_mov_b32_e32 v3, s27
	v_add_co_u32_e32 v4, vcc, s26, v4
	v_addc_co_u32_e32 v5, vcc, v3, v5, vcc
	;; [unrolled: 3-line block ×3, first 2 shown]
	v_cmp_le_i64_e32 vcc, s[28:29], v[0:1]
	v_ashrrev_i32_e32 v7, 31, v6
	s_or_b64 s[38:39], vcc, s[38:39]
	global_store_dwordx2 v[12:13], v[10:11], off
	global_store_dwordx2 v[4:5], v[6:7], off
	s_andn2_b64 exec, exec, s[38:39]
	s_cbranch_execz .LBB2_15
.LBB2_4:                                ; =>This Loop Header: Depth=1
                                        ;     Child Loop BB2_11 Depth 2
                                        ;       Child Loop BB2_13 Depth 3
	v_sub_u32_e32 v4, 0, v0
	v_max_i32_e32 v4, v0, v4
	v_mul_hi_u32 v5, v4, v9
	v_mul_lo_u32 v6, v5, s48
	v_sub_u32_e32 v4, v4, v6
	v_add_u32_e32 v6, 1, v5
	v_cmp_le_u32_e32 vcc, s48, v4
	v_cndmask_b32_e32 v5, v5, v6, vcc
	v_subrev_u32_e32 v6, s48, v4
	v_cndmask_b32_e32 v4, v4, v6, vcc
	v_ashrrev_i32_e32 v3, 31, v0
	v_add_u32_e32 v6, 1, v5
	v_cmp_le_u32_e32 vcc, s48, v4
	v_xor_b32_e32 v3, s55, v3
	v_cndmask_b32_e32 v4, v5, v6, vcc
	v_xor_b32_e32 v4, v4, v3
	v_sub_u32_e32 v6, v4, v3
	v_sub_u32_e32 v4, 0, v6
	v_max_i32_e32 v4, v6, v4
	v_mul_hi_u32 v5, v4, v14
	v_mul_lo_u32 v7, v5, s54
	v_sub_u32_e32 v4, v4, v7
	v_add_u32_e32 v7, 1, v5
	v_cmp_le_u32_e32 vcc, s54, v4
	v_cndmask_b32_e32 v5, v5, v7, vcc
	v_subrev_u32_e32 v7, s54, v4
	v_cndmask_b32_e32 v4, v4, v7, vcc
	v_ashrrev_i32_e32 v3, 31, v6
	v_add_u32_e32 v7, 1, v5
	v_cmp_le_u32_e32 vcc, s54, v4
	v_xor_b32_e32 v3, s56, v3
	v_cndmask_b32_e32 v4, v5, v7, vcc
	v_xor_b32_e32 v4, v4, v3
	v_sub_u32_e32 v4, v4, v3
	v_ashrrev_i32_e32 v5, 31, v4
	v_or_b32_e32 v3, s19, v5
	v_cmp_ne_u64_e32 vcc, 0, v[2:3]
                                        ; implicit-def: $vgpr12_vgpr13
	s_and_saveexec_b64 s[0:1], vcc
	s_xor_b64 s[2:3], exec, s[0:1]
	s_cbranch_execz .LBB2_6
; %bb.5:                                ;   in Loop: Header=BB2_4 Depth=1
	s_ashr_i32 s4, s19, 31
	s_add_u32 s0, s18, s4
	s_mov_b32 s5, s4
	s_addc_u32 s1, s19, s4
	s_xor_b64 s[40:41], s[0:1], s[4:5]
	v_cvt_f32_u32_e32 v3, s40
	v_cvt_f32_u32_e32 v7, s41
	s_sub_u32 s0, 0, s40
	s_subb_u32 s1, 0, s41
	v_mac_f32_e32 v3, 0x4f800000, v7
	v_rcp_f32_e32 v3, v3
	v_mul_f32_e32 v3, 0x5f7ffffc, v3
	v_mul_f32_e32 v7, 0x2f800000, v3
	v_trunc_f32_e32 v7, v7
	v_mac_f32_e32 v3, 0xcf800000, v7
	v_cvt_u32_f32_e32 v7, v7
	v_cvt_u32_f32_e32 v3, v3
	v_mul_lo_u32 v8, s0, v7
	v_mul_hi_u32 v11, s0, v3
	v_mul_lo_u32 v10, s1, v3
	v_add_u32_e32 v8, v11, v8
	v_mul_lo_u32 v12, s0, v3
	v_add_u32_e32 v8, v8, v10
	v_mul_lo_u32 v11, v3, v8
	v_mul_hi_u32 v13, v3, v12
	v_mul_hi_u32 v10, v3, v8
	v_add_co_u32_e32 v11, vcc, v13, v11
	v_addc_co_u32_e32 v10, vcc, 0, v10, vcc
	v_mul_hi_u32 v17, v7, v12
	v_mul_lo_u32 v12, v7, v12
	v_add_co_u32_e32 v11, vcc, v11, v12
	v_mul_hi_u32 v13, v7, v8
	v_addc_co_u32_e32 v10, vcc, v10, v17, vcc
	v_addc_co_u32_e32 v11, vcc, 0, v13, vcc
	v_mul_lo_u32 v8, v7, v8
	v_add_co_u32_e32 v8, vcc, v10, v8
	v_addc_co_u32_e32 v10, vcc, 0, v11, vcc
	v_add_co_u32_e32 v3, vcc, v3, v8
	v_addc_co_u32_e32 v7, vcc, v7, v10, vcc
	v_mul_lo_u32 v8, s0, v7
	v_mul_hi_u32 v10, s0, v3
	v_add_u32_e32 v8, v10, v8
	v_mul_lo_u32 v10, s1, v3
	v_add_u32_e32 v8, v8, v10
	v_mul_lo_u32 v11, s0, v3
	v_mul_hi_u32 v12, v7, v11
	v_mul_lo_u32 v13, v7, v11
	v_mul_lo_u32 v18, v3, v8
	v_mul_hi_u32 v11, v3, v11
	v_mul_hi_u32 v17, v3, v8
	v_add_co_u32_e32 v11, vcc, v11, v18
	v_addc_co_u32_e32 v17, vcc, 0, v17, vcc
	v_add_co_u32_e32 v11, vcc, v11, v13
	v_mul_hi_u32 v10, v7, v8
	v_addc_co_u32_e32 v11, vcc, v17, v12, vcc
	v_addc_co_u32_e32 v10, vcc, 0, v10, vcc
	v_mul_lo_u32 v8, v7, v8
	v_add_co_u32_e32 v8, vcc, v11, v8
	v_addc_co_u32_e32 v10, vcc, 0, v10, vcc
	v_add_co_u32_e32 v12, vcc, v3, v8
	v_addc_co_u32_e32 v7, vcc, v7, v10, vcc
	v_mov_b32_e32 v8, v5
	v_mov_b32_e32 v3, v5
	v_add_co_u32_e32 v10, vcc, v4, v8
	v_addc_co_u32_e32 v11, vcc, v5, v3, vcc
	v_xor_b32_e32 v18, v10, v8
	v_xor_b32_e32 v17, v11, v3
	v_mad_u64_u32 v[10:11], s[0:1], v18, v7, 0
	v_mul_hi_u32 v13, v18, v12
	v_add_co_u32_e32 v19, vcc, v13, v10
	v_addc_co_u32_e32 v20, vcc, 0, v11, vcc
	v_mad_u64_u32 v[12:13], s[0:1], v17, v12, 0
	v_mad_u64_u32 v[10:11], s[0:1], v17, v7, 0
	v_add_co_u32_e32 v7, vcc, v19, v12
	v_addc_co_u32_e32 v7, vcc, v20, v13, vcc
	v_addc_co_u32_e32 v11, vcc, 0, v11, vcc
	v_add_co_u32_e32 v7, vcc, v7, v10
	v_addc_co_u32_e32 v12, vcc, 0, v11, vcc
	v_mul_lo_u32 v13, s41, v7
	v_mul_lo_u32 v19, s40, v12
	v_mad_u64_u32 v[10:11], s[0:1], s40, v7, 0
	v_add3_u32 v11, v11, v19, v13
	v_sub_u32_e32 v13, v17, v11
	v_mov_b32_e32 v19, s41
	v_sub_co_u32_e32 v10, vcc, v18, v10
	v_subb_co_u32_e64 v13, s[0:1], v13, v19, vcc
	v_subrev_co_u32_e64 v18, s[0:1], s40, v10
	v_subbrev_co_u32_e64 v13, s[0:1], 0, v13, s[0:1]
	v_cmp_le_u32_e64 s[0:1], s41, v13
	v_cndmask_b32_e64 v19, 0, -1, s[0:1]
	v_cmp_le_u32_e64 s[0:1], s40, v18
	v_cndmask_b32_e64 v18, 0, -1, s[0:1]
	v_cmp_eq_u32_e64 s[0:1], s41, v13
	v_cndmask_b32_e64 v13, v19, v18, s[0:1]
	v_add_co_u32_e64 v18, s[0:1], 2, v7
	v_subb_co_u32_e32 v11, vcc, v17, v11, vcc
	v_addc_co_u32_e64 v19, s[0:1], 0, v12, s[0:1]
	v_cmp_le_u32_e32 vcc, s41, v11
	v_add_co_u32_e64 v20, s[0:1], 1, v7
	v_cndmask_b32_e64 v17, 0, -1, vcc
	v_cmp_le_u32_e32 vcc, s40, v10
	v_addc_co_u32_e64 v21, s[0:1], 0, v12, s[0:1]
	v_cndmask_b32_e64 v10, 0, -1, vcc
	v_cmp_eq_u32_e32 vcc, s41, v11
	v_cmp_ne_u32_e64 s[0:1], 0, v13
	v_cndmask_b32_e32 v10, v17, v10, vcc
	v_cmp_ne_u32_e32 vcc, 0, v10
	v_cndmask_b32_e64 v11, v20, v18, s[0:1]
	v_cndmask_b32_e64 v13, v21, v19, s[0:1]
	v_cndmask_b32_e32 v7, v7, v11, vcc
	v_xor_b32_e32 v8, s4, v8
	v_cndmask_b32_e32 v10, v12, v13, vcc
	v_xor_b32_e32 v3, s4, v3
	v_xor_b32_e32 v7, v7, v8
	v_xor_b32_e32 v10, v10, v3
	v_sub_co_u32_e32 v12, vcc, v7, v8
	v_subb_co_u32_e32 v13, vcc, v10, v3, vcc
.LBB2_6:                                ;   in Loop: Header=BB2_4 Depth=1
	s_andn2_saveexec_b64 s[0:1], s[2:3]
	s_cbranch_execz .LBB2_8
; %bb.7:                                ;   in Loop: Header=BB2_4 Depth=1
	v_cvt_f32_u32_e32 v3, s18
	s_sub_i32 s2, 0, s18
	v_mov_b32_e32 v13, v2
	v_rcp_iflag_f32_e32 v3, v3
	v_mul_f32_e32 v3, 0x4f7ffffe, v3
	v_cvt_u32_f32_e32 v3, v3
	v_mul_lo_u32 v7, s2, v3
	v_mul_hi_u32 v7, v3, v7
	v_add_u32_e32 v3, v3, v7
	v_mul_hi_u32 v3, v4, v3
	v_mul_lo_u32 v7, v3, s18
	v_sub_u32_e32 v7, v4, v7
	v_add_u32_e32 v8, 1, v3
	v_subrev_u32_e32 v10, s18, v7
	v_cmp_le_u32_e32 vcc, s18, v7
	v_cndmask_b32_e32 v7, v7, v10, vcc
	v_cndmask_b32_e32 v3, v3, v8, vcc
	v_add_u32_e32 v8, 1, v3
	v_cmp_le_u32_e32 vcc, s18, v7
	v_cndmask_b32_e32 v12, v3, v8, vcc
.LBB2_8:                                ;   in Loop: Header=BB2_4 Depth=1
	s_or_b64 exec, exec, s[0:1]
	v_mul_lo_u32 v7, v4, s8
	v_mul_lo_u32 v3, v6, s9
	v_sub_u32_e32 v6, v6, v7
	v_mul_lo_u32 v18, v6, s12
	v_sub_u32_e32 v3, v0, v3
	v_subrev_u32_e32 v6, s14, v18
	v_mul_lo_u32 v19, v3, s13
	v_max_i32_e32 v3, 0, v6
	v_add_u32_e32 v3, s14, v3
	v_cmp_ne_u32_e32 vcc, v3, v18
	v_cndmask_b32_e64 v8, 0, 1, vcc
	v_add_u32_e32 v8, v18, v8
	v_sub_u32_e32 v3, v3, v8
	v_mul_hi_u32 v8, v3, v15
	v_mul_lo_u32 v10, v8, s52
	v_sub_u32_e32 v3, v3, v10
	v_add_u32_e32 v10, 1, v8
	v_cmp_le_u32_e64 s[0:1], s52, v3
	v_cndmask_b32_e64 v8, v8, v10, s[0:1]
	v_subrev_u32_e32 v10, s52, v3
	v_cndmask_b32_e64 v3, v3, v10, s[0:1]
	v_add_u32_e32 v10, 1, v8
	v_cmp_le_u32_e64 s[0:1], s52, v3
	v_cndmask_b32_e64 v3, v8, v10, s[0:1]
	v_addc_co_u32_e32 v3, vcc, 0, v3, vcc
	v_subrev_u32_e32 v20, s15, v19
	v_mul_lo_u32 v21, v3, s6
	v_add_u32_e32 v7, s33, v6
	v_add_u32_e32 v3, v6, v21
	v_max_i32_e32 v6, 0, v20
	v_add_u32_e32 v6, s15, v6
	v_cmp_ne_u32_e32 vcc, v6, v19
	v_cndmask_b32_e64 v8, 0, 1, vcc
	v_add_u32_e32 v8, v19, v8
	v_sub_u32_e32 v6, v6, v8
	v_mul_hi_u32 v8, v6, v16
	v_mul_lo_u32 v10, v8, s53
	v_sub_u32_e32 v6, v6, v10
	v_add_u32_e32 v10, 1, v8
	v_cmp_le_u32_e64 s[0:1], s53, v6
	v_cndmask_b32_e64 v8, v8, v10, s[0:1]
	v_subrev_u32_e32 v10, s53, v6
	v_cndmask_b32_e64 v6, v6, v10, s[0:1]
	v_add_u32_e32 v10, 1, v8
	v_cmp_le_u32_e64 s[0:1], s53, v6
	v_cndmask_b32_e64 v6, v8, v10, s[0:1]
	v_addc_co_u32_e32 v6, vcc, 0, v6, vcc
	v_mul_lo_u32 v22, v6, s7
	v_min_i32_e32 v17, s20, v7
	v_add_u32_e32 v8, v20, v22
	v_mov_b32_e32 v10, 0
	v_mad_u64_u32 v[6:7], s[0:1], v3, s22, v[8:9]
	v_cmp_lt_i32_e32 vcc, v3, v17
	v_mov_b32_e32 v11, 0xfff00000
	s_and_saveexec_b64 s[40:41], vcc
	s_cbranch_execz .LBB2_3
; %bb.9:                                ;   in Loop: Header=BB2_4 Depth=1
	v_mul_lo_u32 v7, v13, s18
	v_mul_lo_u32 v13, v12, s19
	v_mad_u64_u32 v[10:11], s[0:1], v12, s18, 0
	v_add3_u32 v7, v11, v13, v7
	v_sub_co_u32_e32 v4, vcc, v4, v10
	v_subb_co_u32_e32 v5, vcc, v5, v7, vcc
	v_ashrrev_i32_e32 v10, 31, v12
	v_mad_u64_u32 v[4:5], s[0:1], v12, s18, v[4:5]
	v_mul_lo_u32 v10, v10, s18
	v_add3_u32 v5, v10, v5, v13
	v_add3_u32 v12, s21, v18, v21
	;; [unrolled: 1-line block ×3, first 2 shown]
	v_ashrrev_i32_e32 v13, 31, v12
	v_ashrrev_i32_e32 v11, 31, v10
	v_mul_lo_u32 v13, s22, v13
	v_mad_u64_u32 v[10:11], s[0:1], s22, v12, v[10:11]
	v_mul_lo_u32 v18, s23, v12
	v_add3_u32 v11, v18, v11, v13
	v_lshlrev_b64 v[10:11], 3, v[10:11]
	v_mad_u64_u32 v[10:11], s[0:1], s10, v4, v[10:11]
	v_mul_lo_u32 v4, s11, v4
	v_mul_lo_u32 v5, s10, v5
	v_add_u32_e32 v7, s49, v20
	v_add3_u32 v5, v4, v11, v5
	v_mov_b32_e32 v11, s17
	v_add_co_u32_e64 v4, s[0:1], s16, v10
	v_min_i32_e32 v7, s22, v7
	v_addc_co_u32_e64 v5, s[0:1], v11, v5, s[0:1]
	v_mov_b32_e32 v10, 0
	v_cmp_lt_i32_e32 vcc, v8, v7
	v_mul_lo_u32 v18, s22, v12
	s_mov_b64 s[42:43], 0
	v_mov_b32_e32 v11, 0xfff00000
	s_branch .LBB2_11
.LBB2_10:                               ;   in Loop: Header=BB2_11 Depth=2
	s_or_b64 exec, exec, s[44:45]
	v_mov_b32_e32 v12, s35
	v_add_co_u32_e64 v4, s[0:1], s34, v4
	v_add_u32_e32 v3, s6, v3
	v_addc_co_u32_e64 v5, s[0:1], v5, v12, s[0:1]
	v_cmp_ge_i32_e64 s[0:1], v3, v17
	s_or_b64 s[42:43], s[0:1], s[42:43]
	v_add_u32_e32 v18, s30, v18
	s_andn2_b64 exec, exec, s[42:43]
	s_cbranch_execz .LBB2_2
.LBB2_11:                               ;   Parent Loop BB2_4 Depth=1
                                        ; =>  This Loop Header: Depth=2
                                        ;       Child Loop BB2_13 Depth 3
	s_and_saveexec_b64 s[44:45], vcc
	s_cbranch_execz .LBB2_10
; %bb.12:                               ;   in Loop: Header=BB2_11 Depth=2
	s_mov_b64 s[46:47], 0
	v_pk_mov_b32 v[12:13], v[4:5], v[4:5] op_sel:[0,1]
	v_mov_b32_e32 v19, v8
.LBB2_13:                               ;   Parent Loop BB2_4 Depth=1
                                        ;     Parent Loop BB2_11 Depth=2
                                        ; =>    This Inner Loop Header: Depth=3
	global_load_dwordx2 v[20:21], v[12:13], off
	v_mov_b32_e32 v23, s37
	v_add_co_u32_e64 v12, s[0:1], s36, v12
	v_add_u32_e32 v22, v18, v19
	v_add_u32_e32 v19, s7, v19
	v_addc_co_u32_e64 v13, s[0:1], v13, v23, s[0:1]
	v_cmp_ge_i32_e64 s[0:1], v19, v7
	s_waitcnt vmcnt(0)
	v_cmp_gt_f64_e64 s[2:3], v[20:21], v[10:11]
	v_cmp_u_f64_e64 s[4:5], v[20:21], v[20:21]
	s_or_b64 s[2:3], s[2:3], s[4:5]
	v_cndmask_b32_e64 v11, v11, v21, s[2:3]
	v_cndmask_b32_e64 v10, v10, v20, s[2:3]
	s_or_b64 s[46:47], s[0:1], s[46:47]
	v_cndmask_b32_e64 v6, v6, v22, s[2:3]
	s_andn2_b64 exec, exec, s[46:47]
	s_cbranch_execnz .LBB2_13
; %bb.14:                               ;   in Loop: Header=BB2_11 Depth=2
	s_or_b64 exec, exec, s[46:47]
	s_branch .LBB2_10
.LBB2_15:
	s_endpgm
	.section	.rodata,"a",@progbits
	.p2align	6, 0x0
	.amdhsa_kernel _ZN2at6native12_GLOBAL__N_121max_pool_forward_nchwIdiEEvT0_PKT_llliiiiiiiiiiPS4_Pl
		.amdhsa_group_segment_fixed_size 0
		.amdhsa_private_segment_fixed_size 0
		.amdhsa_kernarg_size 352
		.amdhsa_user_sgpr_count 6
		.amdhsa_user_sgpr_private_segment_buffer 1
		.amdhsa_user_sgpr_dispatch_ptr 0
		.amdhsa_user_sgpr_queue_ptr 0
		.amdhsa_user_sgpr_kernarg_segment_ptr 1
		.amdhsa_user_sgpr_dispatch_id 0
		.amdhsa_user_sgpr_flat_scratch_init 0
		.amdhsa_user_sgpr_kernarg_preload_length 0
		.amdhsa_user_sgpr_kernarg_preload_offset 0
		.amdhsa_user_sgpr_private_segment_size 0
		.amdhsa_uses_dynamic_stack 0
		.amdhsa_system_sgpr_private_segment_wavefront_offset 0
		.amdhsa_system_sgpr_workgroup_id_x 1
		.amdhsa_system_sgpr_workgroup_id_y 0
		.amdhsa_system_sgpr_workgroup_id_z 0
		.amdhsa_system_sgpr_workgroup_info 0
		.amdhsa_system_vgpr_workitem_id 0
		.amdhsa_next_free_vgpr 24
		.amdhsa_next_free_sgpr 58
		.amdhsa_accum_offset 24
		.amdhsa_reserve_vcc 1
		.amdhsa_reserve_flat_scratch 0
		.amdhsa_float_round_mode_32 0
		.amdhsa_float_round_mode_16_64 0
		.amdhsa_float_denorm_mode_32 3
		.amdhsa_float_denorm_mode_16_64 3
		.amdhsa_dx10_clamp 1
		.amdhsa_ieee_mode 1
		.amdhsa_fp16_overflow 0
		.amdhsa_tg_split 0
		.amdhsa_exception_fp_ieee_invalid_op 0
		.amdhsa_exception_fp_denorm_src 0
		.amdhsa_exception_fp_ieee_div_zero 0
		.amdhsa_exception_fp_ieee_overflow 0
		.amdhsa_exception_fp_ieee_underflow 0
		.amdhsa_exception_fp_ieee_inexact 0
		.amdhsa_exception_int_div_zero 0
	.end_amdhsa_kernel
	.section	.text._ZN2at6native12_GLOBAL__N_121max_pool_forward_nchwIdiEEvT0_PKT_llliiiiiiiiiiPS4_Pl,"axG",@progbits,_ZN2at6native12_GLOBAL__N_121max_pool_forward_nchwIdiEEvT0_PKT_llliiiiiiiiiiPS4_Pl,comdat
.Lfunc_end2:
	.size	_ZN2at6native12_GLOBAL__N_121max_pool_forward_nchwIdiEEvT0_PKT_llliiiiiiiiiiPS4_Pl, .Lfunc_end2-_ZN2at6native12_GLOBAL__N_121max_pool_forward_nchwIdiEEvT0_PKT_llliiiiiiiiiiPS4_Pl
                                        ; -- End function
	.section	.AMDGPU.csdata,"",@progbits
; Kernel info:
; codeLenInByte = 2236
; NumSgprs: 62
; NumVgprs: 24
; NumAgprs: 0
; TotalNumVgprs: 24
; ScratchSize: 0
; MemoryBound: 0
; FloatMode: 240
; IeeeMode: 1
; LDSByteSize: 0 bytes/workgroup (compile time only)
; SGPRBlocks: 7
; VGPRBlocks: 2
; NumSGPRsForWavesPerEU: 62
; NumVGPRsForWavesPerEU: 24
; AccumOffset: 24
; Occupancy: 8
; WaveLimiterHint : 0
; COMPUTE_PGM_RSRC2:SCRATCH_EN: 0
; COMPUTE_PGM_RSRC2:USER_SGPR: 6
; COMPUTE_PGM_RSRC2:TRAP_HANDLER: 0
; COMPUTE_PGM_RSRC2:TGID_X_EN: 1
; COMPUTE_PGM_RSRC2:TGID_Y_EN: 0
; COMPUTE_PGM_RSRC2:TGID_Z_EN: 0
; COMPUTE_PGM_RSRC2:TIDIG_COMP_CNT: 0
; COMPUTE_PGM_RSRC3_GFX90A:ACCUM_OFFSET: 5
; COMPUTE_PGM_RSRC3_GFX90A:TG_SPLIT: 0
	.section	.text._ZN2at6native12_GLOBAL__N_121max_pool_forward_nchwIdlEEvT0_PKT_llliiiiiiiiiiPS4_Pl,"axG",@progbits,_ZN2at6native12_GLOBAL__N_121max_pool_forward_nchwIdlEEvT0_PKT_llliiiiiiiiiiPS4_Pl,comdat
	.globl	_ZN2at6native12_GLOBAL__N_121max_pool_forward_nchwIdlEEvT0_PKT_llliiiiiiiiiiPS4_Pl ; -- Begin function _ZN2at6native12_GLOBAL__N_121max_pool_forward_nchwIdlEEvT0_PKT_llliiiiiiiiiiPS4_Pl
	.p2align	8
	.type	_ZN2at6native12_GLOBAL__N_121max_pool_forward_nchwIdlEEvT0_PKT_llliiiiiiiiiiPS4_Pl,@function
_ZN2at6native12_GLOBAL__N_121max_pool_forward_nchwIdlEEvT0_PKT_llliiiiiiiiiiPS4_Pl: ; @_ZN2at6native12_GLOBAL__N_121max_pool_forward_nchwIdlEEvT0_PKT_llliiiiiiiiiiPS4_Pl
; %bb.0:
	s_load_dword s2, s[4:5], 0x6c
	s_load_dwordx4 s[16:19], s[4:5], 0x0
	s_add_u32 s0, s4, 0x60
	v_mov_b32_e32 v2, 0
	s_addc_u32 s1, s5, 0
	s_waitcnt lgkmcnt(0)
	s_and_b32 s2, s2, 0xffff
	v_mov_b32_e32 v1, v2
	v_mov_b32_e32 v3, s6
	v_mad_u64_u32 v[0:1], s[6:7], s2, v3, v[0:1]
	v_cmp_gt_i64_e32 vcc, s[16:17], v[0:1]
	s_and_saveexec_b64 s[6:7], vcc
	s_cbranch_execz .LBB3_27
; %bb.1:
	s_load_dwordx8 s[8:15], s[4:5], 0x28
	s_load_dwordx4 s[20:23], s[4:5], 0x18
	s_load_dwordx2 s[6:7], s[4:5], 0x48
	s_load_dwordx4 s[24:27], s[4:5], 0x50
	s_load_dword s3, s[0:1], 0x0
	s_waitcnt lgkmcnt(0)
	v_cvt_f32_u32_e32 v3, s9
	s_add_i32 s0, s10, -1
	s_mul_i32 s51, s0, s6
	s_add_i32 s0, s11, -1
	s_mul_i32 s52, s0, s7
	s_ashr_i32 s11, s6, 31
	s_mov_b32 s10, s6
	v_rcp_iflag_f32_e32 v3, v3
	s_ashr_i32 s33, s9, 31
	s_ashr_i32 s42, s8, 31
	;; [unrolled: 1-line block ×5, first 2 shown]
	s_mov_b32 s48, s13
	s_ashr_i32 s49, s15, 31
	s_add_i32 s51, s51, 1
	s_add_i32 s52, s52, 1
	s_ashr_i32 s13, s7, 31
	v_cmp_gt_u64_e64 s[0:1], s[10:11], 1
	s_mov_b32 s44, s12
	s_mov_b32 s12, s7
	s_and_b64 s[0:1], s[0:1], exec
	v_cmp_gt_u64_e64 s[0:1], s[12:13], 1
	s_cselect_b32 s55, s11, 0
	s_cselect_b32 s56, s6, 1
	s_and_b64 s[0:1], s[0:1], exec
	v_mul_f32_e32 v3, 0x4f7ffffe, v3
	s_mul_i32 s0, s22, s21
	s_mul_hi_u32 s1, s22, s20
	v_cvt_u32_f32_e32 v18, v3
	s_cselect_b32 s57, s13, 0
	s_cselect_b32 s58, s7, 1
	s_add_i32 s0, s1, s0
	s_mul_i32 s1, s23, s20
	s_add_i32 s1, s0, s1
	s_mul_i32 s0, s22, s20
	s_mov_b32 s46, s14
	s_mov_b32 s50, s15
	s_mul_i32 s53, s3, s2
	s_mov_b32 s54, 0
	s_lshl_b64 s[14:15], s[0:1], 3
	s_lshl_b64 s[28:29], s[12:13], 3
	s_mov_b64 s[30:31], 0
	s_branch .LBB3_4
.LBB3_2:                                ;   in Loop: Header=BB3_4 Depth=1
	s_or_b64 exec, exec, s[36:37]
.LBB3_3:                                ;   in Loop: Header=BB3_4 Depth=1
	s_or_b64 exec, exec, s[34:35]
	v_lshlrev_b64 v[4:5], 3, v[0:1]
	v_mov_b32_e32 v3, s25
	v_add_co_u32_e32 v6, vcc, s24, v4
	v_addc_co_u32_e32 v7, vcc, v3, v5, vcc
	v_mov_b32_e32 v3, s27
	v_add_co_u32_e32 v4, vcc, s26, v4
	v_addc_co_u32_e32 v5, vcc, v3, v5, vcc
	;; [unrolled: 3-line block ×3, first 2 shown]
	v_cmp_le_i64_e32 vcc, s[16:17], v[0:1]
	s_or_b64 s[30:31], vcc, s[30:31]
	global_store_dwordx2 v[6:7], v[14:15], off
	global_store_dwordx2 v[4:5], v[8:9], off
	s_andn2_b64 exec, exec, s[30:31]
	s_cbranch_execz .LBB3_27
.LBB3_4:                                ; =>This Loop Header: Depth=1
                                        ;     Child Loop BB3_23 Depth 2
                                        ;       Child Loop BB3_25 Depth 3
	v_or_b32_e32 v3, s33, v1
	v_cmp_ne_u64_e32 vcc, 0, v[2:3]
                                        ; implicit-def: $vgpr6_vgpr7
	s_and_saveexec_b64 s[0:1], vcc
	s_xor_b64 s[2:3], exec, s[0:1]
	s_cbranch_execz .LBB3_6
; %bb.5:                                ;   in Loop: Header=BB3_4 Depth=1
	s_add_u32 s0, s9, s33
	s_mov_b32 s4, s33
	s_mov_b32 s5, s33
	s_addc_u32 s1, s33, s33
	s_xor_b64 s[34:35], s[0:1], s[4:5]
	v_cvt_f32_u32_e32 v3, s34
	v_cvt_f32_u32_e32 v4, s35
	s_sub_u32 s0, 0, s34
	s_subb_u32 s1, 0, s35
	v_mac_f32_e32 v3, 0x4f800000, v4
	v_rcp_f32_e32 v3, v3
	v_mul_f32_e32 v3, 0x5f7ffffc, v3
	v_mul_f32_e32 v4, 0x2f800000, v3
	v_trunc_f32_e32 v4, v4
	v_mac_f32_e32 v3, 0xcf800000, v4
	v_cvt_u32_f32_e32 v4, v4
	v_cvt_u32_f32_e32 v3, v3
	v_mul_lo_u32 v5, s0, v4
	v_mul_hi_u32 v7, s0, v3
	v_mul_lo_u32 v6, s1, v3
	v_add_u32_e32 v5, v7, v5
	v_mul_lo_u32 v8, s0, v3
	v_add_u32_e32 v5, v5, v6
	v_mul_lo_u32 v7, v3, v5
	v_mul_hi_u32 v9, v3, v8
	v_mul_hi_u32 v6, v3, v5
	v_add_co_u32_e32 v7, vcc, v9, v7
	v_addc_co_u32_e32 v6, vcc, 0, v6, vcc
	v_mul_hi_u32 v10, v4, v8
	v_mul_lo_u32 v8, v4, v8
	v_add_co_u32_e32 v7, vcc, v7, v8
	v_mul_hi_u32 v9, v4, v5
	v_addc_co_u32_e32 v6, vcc, v6, v10, vcc
	v_addc_co_u32_e32 v7, vcc, 0, v9, vcc
	v_mul_lo_u32 v5, v4, v5
	v_add_co_u32_e32 v5, vcc, v6, v5
	v_addc_co_u32_e32 v6, vcc, 0, v7, vcc
	v_add_co_u32_e32 v3, vcc, v3, v5
	v_addc_co_u32_e32 v4, vcc, v4, v6, vcc
	v_mul_lo_u32 v5, s0, v4
	v_mul_hi_u32 v6, s0, v3
	v_add_u32_e32 v5, v6, v5
	v_mul_lo_u32 v6, s1, v3
	v_add_u32_e32 v5, v5, v6
	v_mul_lo_u32 v7, s0, v3
	v_mul_hi_u32 v8, v4, v7
	v_mul_lo_u32 v9, v4, v7
	v_mul_lo_u32 v11, v3, v5
	v_mul_hi_u32 v7, v3, v7
	v_mul_hi_u32 v10, v3, v5
	v_add_co_u32_e32 v7, vcc, v7, v11
	v_addc_co_u32_e32 v10, vcc, 0, v10, vcc
	v_add_co_u32_e32 v7, vcc, v7, v9
	v_mul_hi_u32 v6, v4, v5
	v_addc_co_u32_e32 v7, vcc, v10, v8, vcc
	v_addc_co_u32_e32 v6, vcc, 0, v6, vcc
	v_mul_lo_u32 v5, v4, v5
	v_add_co_u32_e32 v5, vcc, v7, v5
	v_addc_co_u32_e32 v6, vcc, 0, v6, vcc
	v_add_co_u32_e32 v3, vcc, v3, v5
	v_addc_co_u32_e32 v6, vcc, v4, v6, vcc
	v_ashrrev_i32_e32 v8, 31, v1
	v_add_co_u32_e32 v4, vcc, v0, v8
	v_addc_co_u32_e32 v5, vcc, v1, v8, vcc
	v_xor_b32_e32 v10, v4, v8
	v_xor_b32_e32 v9, v5, v8
	v_mad_u64_u32 v[4:5], s[0:1], v10, v6, 0
	v_mul_hi_u32 v7, v10, v3
	v_add_co_u32_e32 v11, vcc, v7, v4
	v_addc_co_u32_e32 v12, vcc, 0, v5, vcc
	v_mad_u64_u32 v[4:5], s[0:1], v9, v6, 0
	v_mad_u64_u32 v[6:7], s[0:1], v9, v3, 0
	v_add_co_u32_e32 v3, vcc, v11, v6
	v_addc_co_u32_e32 v3, vcc, v12, v7, vcc
	v_addc_co_u32_e32 v5, vcc, 0, v5, vcc
	v_add_co_u32_e32 v3, vcc, v3, v4
	v_addc_co_u32_e32 v6, vcc, 0, v5, vcc
	v_mul_lo_u32 v7, s35, v3
	v_mul_lo_u32 v11, s34, v6
	v_mad_u64_u32 v[4:5], s[0:1], s34, v3, 0
	v_add3_u32 v5, v5, v11, v7
	v_sub_u32_e32 v7, v9, v5
	v_mov_b32_e32 v11, s35
	v_sub_co_u32_e32 v4, vcc, v10, v4
	v_subb_co_u32_e64 v7, s[0:1], v7, v11, vcc
	v_subrev_co_u32_e64 v10, s[0:1], s34, v4
	v_subbrev_co_u32_e64 v7, s[0:1], 0, v7, s[0:1]
	v_cmp_le_u32_e64 s[0:1], s35, v7
	v_cndmask_b32_e64 v11, 0, -1, s[0:1]
	v_cmp_le_u32_e64 s[0:1], s34, v10
	v_cndmask_b32_e64 v10, 0, -1, s[0:1]
	v_cmp_eq_u32_e64 s[0:1], s35, v7
	v_cndmask_b32_e64 v7, v11, v10, s[0:1]
	v_add_co_u32_e64 v10, s[0:1], 2, v3
	v_subb_co_u32_e32 v5, vcc, v9, v5, vcc
	v_addc_co_u32_e64 v11, s[0:1], 0, v6, s[0:1]
	v_cmp_le_u32_e32 vcc, s35, v5
	v_add_co_u32_e64 v12, s[0:1], 1, v3
	v_cndmask_b32_e64 v9, 0, -1, vcc
	v_cmp_le_u32_e32 vcc, s34, v4
	v_addc_co_u32_e64 v13, s[0:1], 0, v6, s[0:1]
	v_cndmask_b32_e64 v4, 0, -1, vcc
	v_cmp_eq_u32_e32 vcc, s35, v5
	v_cmp_ne_u32_e64 s[0:1], 0, v7
	v_cndmask_b32_e32 v4, v9, v4, vcc
	v_cndmask_b32_e64 v7, v13, v11, s[0:1]
	v_cmp_ne_u32_e32 vcc, 0, v4
	v_cndmask_b32_e64 v5, v12, v10, s[0:1]
	v_cndmask_b32_e32 v4, v6, v7, vcc
	v_cndmask_b32_e32 v3, v3, v5, vcc
	v_xor_b32_e32 v6, s4, v8
	v_xor_b32_e32 v5, s5, v8
	;; [unrolled: 1-line block ×4, first 2 shown]
	v_sub_co_u32_e32 v6, vcc, v3, v6
	v_subb_co_u32_e32 v7, vcc, v4, v5, vcc
.LBB3_6:                                ;   in Loop: Header=BB3_4 Depth=1
	s_andn2_saveexec_b64 s[0:1], s[2:3]
	s_cbranch_execz .LBB3_8
; %bb.7:                                ;   in Loop: Header=BB3_4 Depth=1
	s_sub_i32 s2, 0, s9
	v_mul_lo_u32 v3, s2, v18
	v_mul_hi_u32 v3, v18, v3
	v_add_u32_e32 v3, v18, v3
	v_mul_hi_u32 v3, v0, v3
	v_mul_lo_u32 v4, v3, s9
	v_sub_u32_e32 v4, v0, v4
	v_subrev_u32_e32 v5, s9, v4
	v_cmp_le_u32_e32 vcc, s9, v4
	v_cndmask_b32_e32 v4, v4, v5, vcc
	v_add_u32_e32 v5, 1, v3
	v_cndmask_b32_e32 v3, v3, v5, vcc
	v_add_u32_e32 v5, 1, v3
	v_cmp_le_u32_e32 vcc, s9, v4
	v_cndmask_b32_e32 v6, v3, v5, vcc
	v_mov_b32_e32 v7, v2
.LBB3_8:                                ;   in Loop: Header=BB3_4 Depth=1
	s_or_b64 exec, exec, s[0:1]
	v_or_b32_e32 v3, s42, v7
	v_cmp_ne_u64_e32 vcc, 0, v[2:3]
                                        ; implicit-def: $vgpr4_vgpr5
	s_and_saveexec_b64 s[0:1], vcc
	s_xor_b64 s[2:3], exec, s[0:1]
	s_cbranch_execz .LBB3_10
; %bb.9:                                ;   in Loop: Header=BB3_4 Depth=1
	s_add_u32 s0, s8, s42
	s_mov_b32 s4, s42
	s_mov_b32 s5, s42
	s_addc_u32 s1, s42, s42
	s_xor_b64 s[34:35], s[0:1], s[4:5]
	v_cvt_f32_u32_e32 v3, s34
	v_cvt_f32_u32_e32 v4, s35
	s_sub_u32 s0, 0, s34
	s_subb_u32 s1, 0, s35
	v_mac_f32_e32 v3, 0x4f800000, v4
	v_rcp_f32_e32 v3, v3
	v_mul_f32_e32 v3, 0x5f7ffffc, v3
	v_mul_f32_e32 v4, 0x2f800000, v3
	v_trunc_f32_e32 v4, v4
	v_mac_f32_e32 v3, 0xcf800000, v4
	v_cvt_u32_f32_e32 v4, v4
	v_cvt_u32_f32_e32 v3, v3
	v_mul_lo_u32 v5, s0, v4
	v_mul_hi_u32 v9, s0, v3
	v_mul_lo_u32 v8, s1, v3
	v_add_u32_e32 v5, v9, v5
	v_mul_lo_u32 v10, s0, v3
	v_add_u32_e32 v5, v5, v8
	v_mul_lo_u32 v9, v3, v5
	v_mul_hi_u32 v11, v3, v10
	v_mul_hi_u32 v8, v3, v5
	v_add_co_u32_e32 v9, vcc, v11, v9
	v_addc_co_u32_e32 v8, vcc, 0, v8, vcc
	v_mul_hi_u32 v12, v4, v10
	v_mul_lo_u32 v10, v4, v10
	v_add_co_u32_e32 v9, vcc, v9, v10
	v_mul_hi_u32 v11, v4, v5
	v_addc_co_u32_e32 v8, vcc, v8, v12, vcc
	v_addc_co_u32_e32 v9, vcc, 0, v11, vcc
	v_mul_lo_u32 v5, v4, v5
	v_add_co_u32_e32 v5, vcc, v8, v5
	v_addc_co_u32_e32 v8, vcc, 0, v9, vcc
	v_add_co_u32_e32 v3, vcc, v3, v5
	v_addc_co_u32_e32 v4, vcc, v4, v8, vcc
	v_mul_lo_u32 v5, s0, v4
	v_mul_hi_u32 v8, s0, v3
	v_add_u32_e32 v5, v8, v5
	v_mul_lo_u32 v8, s1, v3
	v_add_u32_e32 v5, v5, v8
	v_mul_lo_u32 v9, s0, v3
	v_mul_hi_u32 v10, v4, v9
	v_mul_lo_u32 v11, v4, v9
	v_mul_lo_u32 v13, v3, v5
	v_mul_hi_u32 v9, v3, v9
	v_mul_hi_u32 v12, v3, v5
	v_add_co_u32_e32 v9, vcc, v9, v13
	v_addc_co_u32_e32 v12, vcc, 0, v12, vcc
	v_add_co_u32_e32 v9, vcc, v9, v11
	v_mul_hi_u32 v8, v4, v5
	v_addc_co_u32_e32 v9, vcc, v12, v10, vcc
	v_addc_co_u32_e32 v8, vcc, 0, v8, vcc
	v_mul_lo_u32 v5, v4, v5
	v_add_co_u32_e32 v5, vcc, v9, v5
	v_addc_co_u32_e32 v8, vcc, 0, v8, vcc
	v_add_co_u32_e32 v3, vcc, v3, v5
	v_addc_co_u32_e32 v8, vcc, v4, v8, vcc
	v_ashrrev_i32_e32 v10, 31, v7
	v_add_co_u32_e32 v4, vcc, v6, v10
	v_addc_co_u32_e32 v5, vcc, v7, v10, vcc
	v_xor_b32_e32 v12, v4, v10
	v_xor_b32_e32 v11, v5, v10
	v_mad_u64_u32 v[4:5], s[0:1], v12, v8, 0
	v_mul_hi_u32 v9, v12, v3
	v_add_co_u32_e32 v13, vcc, v9, v4
	v_addc_co_u32_e32 v14, vcc, 0, v5, vcc
	v_mad_u64_u32 v[4:5], s[0:1], v11, v8, 0
	v_mad_u64_u32 v[8:9], s[0:1], v11, v3, 0
	v_add_co_u32_e32 v3, vcc, v13, v8
	v_addc_co_u32_e32 v3, vcc, v14, v9, vcc
	v_addc_co_u32_e32 v5, vcc, 0, v5, vcc
	v_add_co_u32_e32 v3, vcc, v3, v4
	v_addc_co_u32_e32 v8, vcc, 0, v5, vcc
	v_mul_lo_u32 v9, s35, v3
	v_mul_lo_u32 v13, s34, v8
	v_mad_u64_u32 v[4:5], s[0:1], s34, v3, 0
	v_add3_u32 v5, v5, v13, v9
	v_sub_u32_e32 v9, v11, v5
	v_mov_b32_e32 v13, s35
	v_sub_co_u32_e32 v4, vcc, v12, v4
	v_subb_co_u32_e64 v9, s[0:1], v9, v13, vcc
	v_subrev_co_u32_e64 v12, s[0:1], s34, v4
	v_subbrev_co_u32_e64 v9, s[0:1], 0, v9, s[0:1]
	v_cmp_le_u32_e64 s[0:1], s35, v9
	v_cndmask_b32_e64 v13, 0, -1, s[0:1]
	v_cmp_le_u32_e64 s[0:1], s34, v12
	v_cndmask_b32_e64 v12, 0, -1, s[0:1]
	v_cmp_eq_u32_e64 s[0:1], s35, v9
	v_cndmask_b32_e64 v9, v13, v12, s[0:1]
	v_add_co_u32_e64 v12, s[0:1], 2, v3
	v_subb_co_u32_e32 v5, vcc, v11, v5, vcc
	v_addc_co_u32_e64 v13, s[0:1], 0, v8, s[0:1]
	v_cmp_le_u32_e32 vcc, s35, v5
	v_add_co_u32_e64 v14, s[0:1], 1, v3
	v_cndmask_b32_e64 v11, 0, -1, vcc
	v_cmp_le_u32_e32 vcc, s34, v4
	v_addc_co_u32_e64 v15, s[0:1], 0, v8, s[0:1]
	v_cndmask_b32_e64 v4, 0, -1, vcc
	v_cmp_eq_u32_e32 vcc, s35, v5
	v_cmp_ne_u32_e64 s[0:1], 0, v9
	v_cndmask_b32_e32 v4, v11, v4, vcc
	v_cndmask_b32_e64 v9, v15, v13, s[0:1]
	v_cmp_ne_u32_e32 vcc, 0, v4
	v_cndmask_b32_e64 v5, v14, v12, s[0:1]
	v_cndmask_b32_e32 v4, v8, v9, vcc
	v_cndmask_b32_e32 v3, v3, v5, vcc
	v_xor_b32_e32 v8, s4, v10
	v_xor_b32_e32 v5, s5, v10
	;; [unrolled: 1-line block ×4, first 2 shown]
	v_sub_co_u32_e32 v4, vcc, v3, v8
	v_subb_co_u32_e32 v5, vcc, v9, v5, vcc
.LBB3_10:                               ;   in Loop: Header=BB3_4 Depth=1
	s_andn2_saveexec_b64 s[0:1], s[2:3]
	s_cbranch_execz .LBB3_12
; %bb.11:                               ;   in Loop: Header=BB3_4 Depth=1
	v_cvt_f32_u32_e32 v3, s8
	s_sub_i32 s2, 0, s8
	v_rcp_iflag_f32_e32 v3, v3
	v_mul_f32_e32 v3, 0x4f7ffffe, v3
	v_cvt_u32_f32_e32 v3, v3
	v_mul_lo_u32 v4, s2, v3
	v_mul_hi_u32 v4, v3, v4
	v_add_u32_e32 v3, v3, v4
	v_mul_hi_u32 v3, v6, v3
	v_mul_lo_u32 v4, v3, s8
	v_sub_u32_e32 v4, v6, v4
	v_add_u32_e32 v5, 1, v3
	v_subrev_u32_e32 v8, s8, v4
	v_cmp_le_u32_e32 vcc, s8, v4
	v_cndmask_b32_e32 v4, v4, v8, vcc
	v_cndmask_b32_e32 v3, v3, v5, vcc
	v_add_u32_e32 v5, 1, v3
	v_cmp_le_u32_e32 vcc, s8, v4
	v_cndmask_b32_e32 v4, v3, v5, vcc
	v_mov_b32_e32 v5, v2
.LBB3_12:                               ;   in Loop: Header=BB3_4 Depth=1
	s_or_b64 exec, exec, s[0:1]
	v_mul_lo_u32 v3, v5, s8
	v_mul_lo_u32 v10, v4, s42
	v_mad_u64_u32 v[8:9], s[0:1], v4, s8, 0
	v_add3_u32 v3, v9, v10, v3
	v_sub_co_u32_e32 v14, vcc, v6, v8
	v_subb_co_u32_e32 v3, vcc, v7, v3, vcc
	v_mul_lo_u32 v3, v3, s44
	v_mul_lo_u32 v16, v14, s43
	v_mad_u64_u32 v[10:11], s[0:1], v14, s44, 0
	v_add3_u32 v11, v11, v16, v3
	v_mov_b32_e32 v13, s45
	v_subrev_co_u32_e32 v8, vcc, s46, v10
	v_subb_co_u32_e32 v9, vcc, v11, v13, vcc
	v_cmp_lt_i64_e32 vcc, 0, v[8:9]
	v_cndmask_b32_e32 v12, 0, v8, vcc
	v_cndmask_b32_e32 v15, 0, v9, vcc
	v_add_co_u32_e32 v12, vcc, s46, v12
	v_addc_co_u32_e32 v13, vcc, v15, v13, vcc
	v_cmp_ne_u64_e32 vcc, v[12:13], v[10:11]
	v_cndmask_b32_e64 v10, 0, 1, vcc
	v_mov_b32_e32 v11, s54
	v_mad_u64_u32 v[14:15], s[0:1], v14, s44, v[10:11]
	v_add3_u32 v3, v3, v15, v16
	v_sub_co_u32_e32 v11, vcc, v12, v14
	v_subb_co_u32_e32 v14, vcc, v13, v3, vcc
	v_or_b32_e32 v3, s55, v14
	v_cmp_ne_u64_e32 vcc, 0, v[2:3]
                                        ; implicit-def: $vgpr12_vgpr13
	s_and_saveexec_b64 s[0:1], vcc
	s_xor_b64 s[2:3], exec, s[0:1]
	s_cbranch_execz .LBB3_14
; %bb.13:                               ;   in Loop: Header=BB3_4 Depth=1
	v_cvt_f32_u32_e32 v3, s56
	v_cvt_f32_u32_e32 v12, s55
	s_sub_u32 s0, 0, s56
	s_subb_u32 s1, 0, s55
	v_mac_f32_e32 v3, 0x4f800000, v12
	v_rcp_f32_e32 v3, v3
	v_mul_f32_e32 v3, 0x5f7ffffc, v3
	v_mul_f32_e32 v12, 0x2f800000, v3
	v_trunc_f32_e32 v12, v12
	v_mac_f32_e32 v3, 0xcf800000, v12
	v_cvt_u32_f32_e32 v12, v12
	v_cvt_u32_f32_e32 v3, v3
	v_mul_lo_u32 v13, s0, v12
	v_mul_hi_u32 v16, s0, v3
	v_mul_lo_u32 v15, s1, v3
	v_add_u32_e32 v13, v16, v13
	v_mul_lo_u32 v17, s0, v3
	v_add_u32_e32 v13, v13, v15
	v_mul_hi_u32 v16, v3, v17
	v_mul_lo_u32 v19, v3, v13
	v_mul_hi_u32 v15, v3, v13
	v_add_co_u32_e32 v16, vcc, v16, v19
	v_addc_co_u32_e32 v15, vcc, 0, v15, vcc
	v_mul_hi_u32 v20, v12, v17
	v_mul_lo_u32 v17, v12, v17
	v_add_co_u32_e32 v16, vcc, v16, v17
	v_mul_hi_u32 v19, v12, v13
	v_addc_co_u32_e32 v15, vcc, v15, v20, vcc
	v_addc_co_u32_e32 v16, vcc, 0, v19, vcc
	v_mul_lo_u32 v13, v12, v13
	v_add_co_u32_e32 v13, vcc, v15, v13
	v_addc_co_u32_e32 v15, vcc, 0, v16, vcc
	v_add_co_u32_e32 v3, vcc, v3, v13
	v_addc_co_u32_e32 v12, vcc, v12, v15, vcc
	v_mul_lo_u32 v13, s0, v12
	v_mul_hi_u32 v15, s0, v3
	v_add_u32_e32 v13, v15, v13
	v_mul_lo_u32 v15, s1, v3
	v_add_u32_e32 v13, v13, v15
	v_mul_lo_u32 v16, s0, v3
	v_mul_hi_u32 v17, v12, v16
	v_mul_lo_u32 v19, v12, v16
	v_mul_lo_u32 v21, v3, v13
	v_mul_hi_u32 v16, v3, v16
	v_mul_hi_u32 v20, v3, v13
	v_add_co_u32_e32 v16, vcc, v16, v21
	v_addc_co_u32_e32 v20, vcc, 0, v20, vcc
	v_add_co_u32_e32 v16, vcc, v16, v19
	v_mul_hi_u32 v15, v12, v13
	v_addc_co_u32_e32 v16, vcc, v20, v17, vcc
	v_addc_co_u32_e32 v15, vcc, 0, v15, vcc
	v_mul_lo_u32 v13, v12, v13
	v_add_co_u32_e32 v13, vcc, v16, v13
	v_addc_co_u32_e32 v15, vcc, 0, v15, vcc
	v_add_co_u32_e32 v3, vcc, v3, v13
	v_addc_co_u32_e32 v15, vcc, v12, v15, vcc
	v_mad_u64_u32 v[12:13], s[0:1], v11, v15, 0
	v_mul_hi_u32 v16, v11, v3
	v_add_co_u32_e32 v19, vcc, v16, v12
	v_addc_co_u32_e32 v20, vcc, 0, v13, vcc
	v_mad_u64_u32 v[16:17], s[0:1], v14, v3, 0
	v_add_co_u32_e32 v3, vcc, v19, v16
	v_mad_u64_u32 v[12:13], s[0:1], v14, v15, 0
	v_addc_co_u32_e32 v3, vcc, v20, v17, vcc
	v_addc_co_u32_e32 v13, vcc, 0, v13, vcc
	v_add_co_u32_e32 v3, vcc, v3, v12
	v_addc_co_u32_e32 v15, vcc, 0, v13, vcc
	v_mul_lo_u32 v16, s55, v3
	v_mul_lo_u32 v17, s56, v15
	v_mad_u64_u32 v[12:13], s[0:1], s56, v3, 0
	v_add3_u32 v13, v13, v17, v16
	v_sub_u32_e32 v16, v14, v13
	v_mov_b32_e32 v17, s55
	v_sub_co_u32_e32 v11, vcc, v11, v12
	v_subb_co_u32_e64 v12, s[0:1], v16, v17, vcc
	v_subrev_co_u32_e64 v16, s[0:1], s56, v11
	v_subbrev_co_u32_e64 v12, s[0:1], 0, v12, s[0:1]
	v_cmp_le_u32_e64 s[0:1], s55, v12
	v_cndmask_b32_e64 v17, 0, -1, s[0:1]
	v_cmp_le_u32_e64 s[0:1], s56, v16
	v_cndmask_b32_e64 v16, 0, -1, s[0:1]
	v_cmp_eq_u32_e64 s[0:1], s55, v12
	v_cndmask_b32_e64 v12, v17, v16, s[0:1]
	v_add_co_u32_e64 v16, s[0:1], 2, v3
	v_subb_co_u32_e32 v13, vcc, v14, v13, vcc
	v_addc_co_u32_e64 v17, s[0:1], 0, v15, s[0:1]
	v_cmp_le_u32_e32 vcc, s55, v13
	v_add_co_u32_e64 v19, s[0:1], 1, v3
	v_cndmask_b32_e64 v14, 0, -1, vcc
	v_cmp_le_u32_e32 vcc, s56, v11
	v_addc_co_u32_e64 v20, s[0:1], 0, v15, s[0:1]
	v_cndmask_b32_e64 v11, 0, -1, vcc
	v_cmp_eq_u32_e32 vcc, s55, v13
	v_cmp_ne_u32_e64 s[0:1], 0, v12
	v_cndmask_b32_e32 v11, v14, v11, vcc
	v_cndmask_b32_e64 v12, v20, v17, s[0:1]
	v_cmp_ne_u32_e32 vcc, 0, v11
	v_cndmask_b32_e64 v11, v19, v16, s[0:1]
	v_cndmask_b32_e32 v13, v15, v12, vcc
	v_cndmask_b32_e32 v12, v3, v11, vcc
                                        ; implicit-def: $vgpr11
.LBB3_14:                               ;   in Loop: Header=BB3_4 Depth=1
	s_andn2_saveexec_b64 s[0:1], s[2:3]
	s_cbranch_execz .LBB3_16
; %bb.15:                               ;   in Loop: Header=BB3_4 Depth=1
	v_cvt_f32_u32_e32 v3, s56
	s_sub_i32 s2, 0, s56
	v_rcp_iflag_f32_e32 v3, v3
	v_mul_f32_e32 v3, 0x4f7ffffe, v3
	v_cvt_u32_f32_e32 v3, v3
	v_mul_lo_u32 v12, s2, v3
	v_mul_hi_u32 v12, v3, v12
	v_add_u32_e32 v3, v3, v12
	v_mul_hi_u32 v3, v11, v3
	v_mul_lo_u32 v12, v3, s56
	v_sub_u32_e32 v11, v11, v12
	v_add_u32_e32 v13, 1, v3
	v_subrev_u32_e32 v12, s56, v11
	v_cmp_le_u32_e32 vcc, s56, v11
	v_cndmask_b32_e32 v11, v11, v12, vcc
	v_cndmask_b32_e32 v3, v3, v13, vcc
	v_add_u32_e32 v12, 1, v3
	v_cmp_le_u32_e32 vcc, s56, v11
	v_cndmask_b32_e32 v12, v3, v12, vcc
	v_mov_b32_e32 v13, v2
.LBB3_16:                               ;   in Loop: Header=BB3_4 Depth=1
	s_or_b64 exec, exec, s[0:1]
	v_mul_lo_u32 v3, v7, s9
	v_mul_lo_u32 v11, v6, s33
	v_mad_u64_u32 v[6:7], s[0:1], v6, s9, 0
	v_add3_u32 v3, v7, v11, v3
	v_sub_co_u32_e32 v11, vcc, v0, v6
	v_subb_co_u32_e32 v3, vcc, v1, v3, vcc
	v_mul_lo_u32 v3, v3, s48
	v_mul_lo_u32 v19, v11, s47
	v_mad_u64_u32 v[14:15], s[0:1], v11, s48, 0
	v_add3_u32 v15, v15, v19, v3
	v_mov_b32_e32 v17, s49
	v_subrev_co_u32_e32 v6, vcc, s50, v14
	v_subb_co_u32_e32 v7, vcc, v15, v17, vcc
	v_cmp_lt_i64_e32 vcc, 0, v[6:7]
	v_cndmask_b32_e32 v16, 0, v6, vcc
	v_cndmask_b32_e32 v20, 0, v7, vcc
	v_add_co_u32_e32 v16, vcc, s50, v16
	v_addc_co_u32_e32 v17, vcc, v20, v17, vcc
	v_cmp_ne_u64_e32 vcc, v[16:17], v[14:15]
	v_cndmask_b32_e64 v14, 0, 1, vcc
	v_mov_b32_e32 v15, s54
	v_mad_u64_u32 v[20:21], s[0:1], v11, s48, v[14:15]
	v_add3_u32 v3, v3, v21, v19
	v_sub_co_u32_e32 v11, vcc, v16, v20
	v_subb_co_u32_e32 v15, vcc, v17, v3, vcc
	v_or_b32_e32 v3, s57, v15
	v_cmp_ne_u64_e32 vcc, 0, v[2:3]
                                        ; implicit-def: $vgpr16_vgpr17
	s_and_saveexec_b64 s[0:1], vcc
	s_xor_b64 s[2:3], exec, s[0:1]
	s_cbranch_execz .LBB3_18
; %bb.17:                               ;   in Loop: Header=BB3_4 Depth=1
	v_cvt_f32_u32_e32 v3, s58
	v_cvt_f32_u32_e32 v16, s57
	s_sub_u32 s0, 0, s58
	s_subb_u32 s1, 0, s57
	v_mac_f32_e32 v3, 0x4f800000, v16
	v_rcp_f32_e32 v3, v3
	v_mul_f32_e32 v3, 0x5f7ffffc, v3
	v_mul_f32_e32 v16, 0x2f800000, v3
	v_trunc_f32_e32 v16, v16
	v_mac_f32_e32 v3, 0xcf800000, v16
	v_cvt_u32_f32_e32 v16, v16
	v_cvt_u32_f32_e32 v3, v3
	v_mul_lo_u32 v17, s0, v16
	v_mul_hi_u32 v20, s0, v3
	v_mul_lo_u32 v19, s1, v3
	v_add_u32_e32 v17, v20, v17
	v_mul_lo_u32 v21, s0, v3
	v_add_u32_e32 v17, v17, v19
	v_mul_hi_u32 v20, v3, v21
	v_mul_lo_u32 v22, v3, v17
	v_mul_hi_u32 v19, v3, v17
	v_add_co_u32_e32 v20, vcc, v20, v22
	v_addc_co_u32_e32 v19, vcc, 0, v19, vcc
	v_mul_hi_u32 v23, v16, v21
	v_mul_lo_u32 v21, v16, v21
	v_add_co_u32_e32 v20, vcc, v20, v21
	v_mul_hi_u32 v22, v16, v17
	v_addc_co_u32_e32 v19, vcc, v19, v23, vcc
	v_addc_co_u32_e32 v20, vcc, 0, v22, vcc
	v_mul_lo_u32 v17, v16, v17
	v_add_co_u32_e32 v17, vcc, v19, v17
	v_addc_co_u32_e32 v19, vcc, 0, v20, vcc
	v_add_co_u32_e32 v3, vcc, v3, v17
	v_addc_co_u32_e32 v16, vcc, v16, v19, vcc
	v_mul_lo_u32 v17, s0, v16
	v_mul_hi_u32 v19, s0, v3
	v_add_u32_e32 v17, v19, v17
	v_mul_lo_u32 v19, s1, v3
	v_add_u32_e32 v17, v17, v19
	v_mul_lo_u32 v20, s0, v3
	v_mul_hi_u32 v21, v16, v20
	v_mul_lo_u32 v22, v16, v20
	v_mul_lo_u32 v24, v3, v17
	v_mul_hi_u32 v20, v3, v20
	v_mul_hi_u32 v23, v3, v17
	v_add_co_u32_e32 v20, vcc, v20, v24
	v_addc_co_u32_e32 v23, vcc, 0, v23, vcc
	v_add_co_u32_e32 v20, vcc, v20, v22
	v_mul_hi_u32 v19, v16, v17
	v_addc_co_u32_e32 v20, vcc, v23, v21, vcc
	v_addc_co_u32_e32 v19, vcc, 0, v19, vcc
	v_mul_lo_u32 v17, v16, v17
	v_add_co_u32_e32 v17, vcc, v20, v17
	v_addc_co_u32_e32 v19, vcc, 0, v19, vcc
	v_add_co_u32_e32 v3, vcc, v3, v17
	v_addc_co_u32_e32 v19, vcc, v16, v19, vcc
	v_mad_u64_u32 v[16:17], s[0:1], v11, v19, 0
	v_mul_hi_u32 v20, v11, v3
	v_add_co_u32_e32 v22, vcc, v20, v16
	v_addc_co_u32_e32 v23, vcc, 0, v17, vcc
	v_mad_u64_u32 v[20:21], s[0:1], v15, v3, 0
	v_add_co_u32_e32 v3, vcc, v22, v20
	v_mad_u64_u32 v[16:17], s[0:1], v15, v19, 0
	v_addc_co_u32_e32 v3, vcc, v23, v21, vcc
	v_addc_co_u32_e32 v17, vcc, 0, v17, vcc
	v_add_co_u32_e32 v3, vcc, v3, v16
	v_addc_co_u32_e32 v19, vcc, 0, v17, vcc
	v_mul_lo_u32 v20, s57, v3
	v_mul_lo_u32 v21, s58, v19
	v_mad_u64_u32 v[16:17], s[0:1], s58, v3, 0
	v_add3_u32 v17, v17, v21, v20
	v_sub_u32_e32 v20, v15, v17
	v_mov_b32_e32 v21, s57
	v_sub_co_u32_e32 v11, vcc, v11, v16
	v_subb_co_u32_e64 v16, s[0:1], v20, v21, vcc
	v_subrev_co_u32_e64 v20, s[0:1], s58, v11
	v_subbrev_co_u32_e64 v16, s[0:1], 0, v16, s[0:1]
	v_cmp_le_u32_e64 s[0:1], s57, v16
	v_cndmask_b32_e64 v21, 0, -1, s[0:1]
	v_cmp_le_u32_e64 s[0:1], s58, v20
	v_cndmask_b32_e64 v20, 0, -1, s[0:1]
	v_cmp_eq_u32_e64 s[0:1], s57, v16
	v_cndmask_b32_e64 v16, v21, v20, s[0:1]
	v_add_co_u32_e64 v20, s[0:1], 2, v3
	v_subb_co_u32_e32 v15, vcc, v15, v17, vcc
	v_addc_co_u32_e64 v21, s[0:1], 0, v19, s[0:1]
	v_cmp_le_u32_e32 vcc, s57, v15
	v_add_co_u32_e64 v22, s[0:1], 1, v3
	v_cndmask_b32_e64 v17, 0, -1, vcc
	v_cmp_le_u32_e32 vcc, s58, v11
	v_addc_co_u32_e64 v23, s[0:1], 0, v19, s[0:1]
	v_cndmask_b32_e64 v11, 0, -1, vcc
	v_cmp_eq_u32_e32 vcc, s57, v15
	v_cmp_ne_u32_e64 s[0:1], 0, v16
	v_cndmask_b32_e32 v11, v17, v11, vcc
	v_cndmask_b32_e64 v16, v23, v21, s[0:1]
	v_cmp_ne_u32_e32 vcc, 0, v11
	v_cndmask_b32_e64 v11, v22, v20, s[0:1]
	v_cndmask_b32_e32 v17, v19, v16, vcc
	v_cndmask_b32_e32 v16, v3, v11, vcc
                                        ; implicit-def: $vgpr11
.LBB3_18:                               ;   in Loop: Header=BB3_4 Depth=1
	s_andn2_saveexec_b64 s[0:1], s[2:3]
	s_cbranch_execz .LBB3_20
; %bb.19:                               ;   in Loop: Header=BB3_4 Depth=1
	v_cvt_f32_u32_e32 v3, s58
	s_sub_i32 s2, 0, s58
	v_mov_b32_e32 v17, v2
	v_rcp_iflag_f32_e32 v3, v3
	v_mul_f32_e32 v3, 0x4f7ffffe, v3
	v_cvt_u32_f32_e32 v3, v3
	v_mul_lo_u32 v15, s2, v3
	v_mul_hi_u32 v15, v3, v15
	v_add_u32_e32 v3, v3, v15
	v_mul_hi_u32 v3, v11, v3
	v_mul_lo_u32 v15, v3, s58
	v_sub_u32_e32 v11, v11, v15
	v_add_u32_e32 v16, 1, v3
	v_subrev_u32_e32 v15, s58, v11
	v_cmp_le_u32_e32 vcc, s58, v11
	v_cndmask_b32_e32 v11, v11, v15, vcc
	v_cndmask_b32_e32 v3, v3, v16, vcc
	v_add_u32_e32 v15, 1, v3
	v_cmp_le_u32_e32 vcc, s58, v11
	v_cndmask_b32_e32 v16, v3, v15, vcc
.LBB3_20:                               ;   in Loop: Header=BB3_4 Depth=1
	s_or_b64 exec, exec, s[0:1]
	v_add_co_u32_e32 v3, vcc, v12, v10
	v_addc_co_u32_e32 v10, vcc, 0, v13, vcc
	v_mul_lo_u32 v12, v3, s11
	v_mul_lo_u32 v13, v10, s10
	v_mad_u64_u32 v[10:11], s[0:1], v3, s10, v[8:9]
	v_add_co_u32_e32 v9, vcc, v16, v14
	v_add3_u32 v3, v13, v11, v12
	v_add_u32_e32 v8, s51, v8
	v_addc_co_u32_e32 v12, vcc, 0, v17, vcc
	v_min_i32_e32 v11, s20, v8
	v_mul_lo_u32 v8, v9, s13
	v_mul_lo_u32 v14, v12, s12
	v_mad_u64_u32 v[12:13], s[0:1], v9, s12, v[6:7]
	v_add3_u32 v13, v14, v13, v8
	v_mul_lo_u32 v3, v3, s22
	v_mad_u64_u32 v[8:9], s[0:1], v10, s22, v[12:13]
	v_mul_lo_u32 v7, v10, s23
	v_mov_b32_e32 v14, 0
	v_add3_u32 v9, v3, v9, v7
	v_cmp_gt_i32_e32 vcc, v11, v10
	v_mov_b32_e32 v15, 0xfff00000
	s_and_saveexec_b64 s[34:35], vcc
	s_cbranch_execz .LBB3_3
; %bb.21:                               ;   in Loop: Header=BB3_4 Depth=1
	v_add_u32_e32 v3, s52, v6
	v_pk_mov_b32 v[6:7], s[18:19], s[18:19] op_sel:[0,1]
	v_min_i32_e32 v19, s22, v3
	v_mad_u64_u32 v[6:7], s[0:1], s14, v4, v[6:7]
	v_mul_lo_u32 v5, s14, v5
	v_mul_lo_u32 v4, s15, v4
	v_mov_b32_e32 v14, 0
	v_ashrrev_i32_e32 v3, 31, v10
	v_cmp_gt_i32_e32 vcc, v19, v12
	v_add3_u32 v7, v4, v7, v5
	s_mov_b64 s[36:37], 0
	v_mov_b32_e32 v15, 0xfff00000
	s_branch .LBB3_23
.LBB3_22:                               ;   in Loop: Header=BB3_23 Depth=2
	s_or_b64 exec, exec, s[38:39]
	v_add_u32_e32 v10, s6, v10
	v_cmp_ge_i32_e64 s[0:1], v10, v11
	s_or_b64 s[36:37], s[0:1], s[36:37]
	v_ashrrev_i32_e32 v3, 31, v10
	s_andn2_b64 exec, exec, s[36:37]
	s_cbranch_execz .LBB3_2
.LBB3_23:                               ;   Parent Loop BB3_4 Depth=1
                                        ; =>  This Loop Header: Depth=2
                                        ;       Child Loop BB3_25 Depth 3
	s_and_saveexec_b64 s[38:39], vcc
	s_cbranch_execz .LBB3_22
; %bb.24:                               ;   in Loop: Header=BB3_23 Depth=2
	v_ashrrev_i32_e32 v13, 31, v12
	v_mul_lo_u32 v16, v10, s23
	v_mul_lo_u32 v3, v3, s22
	v_mad_u64_u32 v[4:5], s[0:1], v10, s22, v[12:13]
	v_add3_u32 v5, v3, v5, v16
	v_lshlrev_b64 v[16:17], 3, v[4:5]
	v_add_co_u32_e64 v16, s[0:1], v6, v16
	v_addc_co_u32_e64 v17, s[0:1], v7, v17, s[0:1]
	s_mov_b64 s[40:41], 0
	v_mov_b32_e32 v3, v12
.LBB3_25:                               ;   Parent Loop BB3_4 Depth=1
                                        ;     Parent Loop BB3_23 Depth=2
                                        ; =>    This Inner Loop Header: Depth=3
	global_load_dwordx2 v[20:21], v[16:17], off
	v_mov_b32_e32 v22, s29
	v_add_co_u32_e64 v16, s[0:1], s28, v16
	v_add_u32_e32 v3, s7, v3
	v_addc_co_u32_e64 v17, s[0:1], v17, v22, s[0:1]
	v_cmp_ge_i32_e64 s[0:1], v3, v19
	v_mov_b32_e32 v13, s13
	s_waitcnt vmcnt(0)
	v_cmp_gt_f64_e64 s[2:3], v[20:21], v[14:15]
	v_cmp_u_f64_e64 s[4:5], v[20:21], v[20:21]
	s_or_b64 s[2:3], s[2:3], s[4:5]
	v_cndmask_b32_e64 v8, v8, v4, s[2:3]
	s_or_b64 s[40:41], s[0:1], s[40:41]
	v_add_co_u32_e64 v4, s[0:1], s12, v4
	v_cndmask_b32_e64 v15, v15, v21, s[2:3]
	v_cndmask_b32_e64 v14, v14, v20, s[2:3]
	;; [unrolled: 1-line block ×3, first 2 shown]
	v_addc_co_u32_e64 v5, s[0:1], v5, v13, s[0:1]
	s_andn2_b64 exec, exec, s[40:41]
	s_cbranch_execnz .LBB3_25
; %bb.26:                               ;   in Loop: Header=BB3_23 Depth=2
	s_or_b64 exec, exec, s[40:41]
	s_branch .LBB3_22
.LBB3_27:
	s_endpgm
	.section	.rodata,"a",@progbits
	.p2align	6, 0x0
	.amdhsa_kernel _ZN2at6native12_GLOBAL__N_121max_pool_forward_nchwIdlEEvT0_PKT_llliiiiiiiiiiPS4_Pl
		.amdhsa_group_segment_fixed_size 0
		.amdhsa_private_segment_fixed_size 0
		.amdhsa_kernarg_size 352
		.amdhsa_user_sgpr_count 6
		.amdhsa_user_sgpr_private_segment_buffer 1
		.amdhsa_user_sgpr_dispatch_ptr 0
		.amdhsa_user_sgpr_queue_ptr 0
		.amdhsa_user_sgpr_kernarg_segment_ptr 1
		.amdhsa_user_sgpr_dispatch_id 0
		.amdhsa_user_sgpr_flat_scratch_init 0
		.amdhsa_user_sgpr_kernarg_preload_length 0
		.amdhsa_user_sgpr_kernarg_preload_offset 0
		.amdhsa_user_sgpr_private_segment_size 0
		.amdhsa_uses_dynamic_stack 0
		.amdhsa_system_sgpr_private_segment_wavefront_offset 0
		.amdhsa_system_sgpr_workgroup_id_x 1
		.amdhsa_system_sgpr_workgroup_id_y 0
		.amdhsa_system_sgpr_workgroup_id_z 0
		.amdhsa_system_sgpr_workgroup_info 0
		.amdhsa_system_vgpr_workitem_id 0
		.amdhsa_next_free_vgpr 25
		.amdhsa_next_free_sgpr 59
		.amdhsa_accum_offset 28
		.amdhsa_reserve_vcc 1
		.amdhsa_reserve_flat_scratch 0
		.amdhsa_float_round_mode_32 0
		.amdhsa_float_round_mode_16_64 0
		.amdhsa_float_denorm_mode_32 3
		.amdhsa_float_denorm_mode_16_64 3
		.amdhsa_dx10_clamp 1
		.amdhsa_ieee_mode 1
		.amdhsa_fp16_overflow 0
		.amdhsa_tg_split 0
		.amdhsa_exception_fp_ieee_invalid_op 0
		.amdhsa_exception_fp_denorm_src 0
		.amdhsa_exception_fp_ieee_div_zero 0
		.amdhsa_exception_fp_ieee_overflow 0
		.amdhsa_exception_fp_ieee_underflow 0
		.amdhsa_exception_fp_ieee_inexact 0
		.amdhsa_exception_int_div_zero 0
	.end_amdhsa_kernel
	.section	.text._ZN2at6native12_GLOBAL__N_121max_pool_forward_nchwIdlEEvT0_PKT_llliiiiiiiiiiPS4_Pl,"axG",@progbits,_ZN2at6native12_GLOBAL__N_121max_pool_forward_nchwIdlEEvT0_PKT_llliiiiiiiiiiPS4_Pl,comdat
.Lfunc_end3:
	.size	_ZN2at6native12_GLOBAL__N_121max_pool_forward_nchwIdlEEvT0_PKT_llliiiiiiiiiiPS4_Pl, .Lfunc_end3-_ZN2at6native12_GLOBAL__N_121max_pool_forward_nchwIdlEEvT0_PKT_llliiiiiiiiiiPS4_Pl
                                        ; -- End function
	.section	.AMDGPU.csdata,"",@progbits
; Kernel info:
; codeLenInByte = 4212
; NumSgprs: 63
; NumVgprs: 25
; NumAgprs: 0
; TotalNumVgprs: 25
; ScratchSize: 0
; MemoryBound: 0
; FloatMode: 240
; IeeeMode: 1
; LDSByteSize: 0 bytes/workgroup (compile time only)
; SGPRBlocks: 7
; VGPRBlocks: 3
; NumSGPRsForWavesPerEU: 63
; NumVGPRsForWavesPerEU: 25
; AccumOffset: 28
; Occupancy: 8
; WaveLimiterHint : 0
; COMPUTE_PGM_RSRC2:SCRATCH_EN: 0
; COMPUTE_PGM_RSRC2:USER_SGPR: 6
; COMPUTE_PGM_RSRC2:TRAP_HANDLER: 0
; COMPUTE_PGM_RSRC2:TGID_X_EN: 1
; COMPUTE_PGM_RSRC2:TGID_Y_EN: 0
; COMPUTE_PGM_RSRC2:TGID_Z_EN: 0
; COMPUTE_PGM_RSRC2:TIDIG_COMP_CNT: 0
; COMPUTE_PGM_RSRC3_GFX90A:ACCUM_OFFSET: 6
; COMPUTE_PGM_RSRC3_GFX90A:TG_SPLIT: 0
	.section	.text._ZN2at6native12_GLOBAL__N_121max_pool_forward_nhwcIfiEEvPKT_iT0_S6_S6_S6_S6_iiiiiiiiS6_S6_S6_S6_iiPS3_Pl,"axG",@progbits,_ZN2at6native12_GLOBAL__N_121max_pool_forward_nhwcIfiEEvPKT_iT0_S6_S6_S6_S6_iiiiiiiiS6_S6_S6_S6_iiPS3_Pl,comdat
	.globl	_ZN2at6native12_GLOBAL__N_121max_pool_forward_nhwcIfiEEvPKT_iT0_S6_S6_S6_S6_iiiiiiiiS6_S6_S6_S6_iiPS3_Pl ; -- Begin function _ZN2at6native12_GLOBAL__N_121max_pool_forward_nhwcIfiEEvPKT_iT0_S6_S6_S6_S6_iiiiiiiiS6_S6_S6_S6_iiPS3_Pl
	.p2align	8
	.type	_ZN2at6native12_GLOBAL__N_121max_pool_forward_nhwcIfiEEvPKT_iT0_S6_S6_S6_S6_iiiiiiiiS6_S6_S6_S6_iiPS3_Pl,@function
_ZN2at6native12_GLOBAL__N_121max_pool_forward_nhwcIfiEEvPKT_iT0_S6_S6_S6_S6_iiiiiiiiS6_S6_S6_S6_iiPS3_Pl: ; @_ZN2at6native12_GLOBAL__N_121max_pool_forward_nhwcIfiEEvPKT_iT0_S6_S6_S6_S6_iiiiiiiiS6_S6_S6_S6_iiPS3_Pl
; %bb.0:
	s_load_dwordx4 s[0:3], s[4:5], 0x6c
	s_load_dwordx4 s[36:39], s[4:5], 0x48
	v_bfe_u32 v2, v0, 10, 10
	v_bfe_u32 v3, v0, 20, 10
	v_and_b32_e32 v6, 0x3ff, v0
	s_waitcnt lgkmcnt(0)
	s_and_b32 s15, s2, 0xffff
	s_lshr_b32 s56, s2, 16
	s_mul_i32 s14, s15, s39
	s_and_b32 s33, s3, 0xffff
	s_mul_i32 s9, s14, s56
	v_mad_u32_u24 v7, v3, s56, v2
	s_mul_i32 s9, s9, s33
	v_mad_u64_u32 v[0:1], s[2:3], v7, s15, v[6:7]
	v_cmp_gt_u32_e32 vcc, s9, v0
	s_and_saveexec_b64 s[2:3], vcc
	s_cbranch_execz .LBB4_3
; %bb.1:
	s_mul_i32 s12, s56, s15
	s_mul_i32 s12, s12, s33
	s_lshl_b32 s13, s9, 2
	v_lshl_add_u32 v1, v0, 2, 0
	s_lshl_b32 s16, s12, 2
	s_mov_b64 s[10:11], 0
	v_mov_b32_e32 v4, 0xff800000
	v_mov_b32_e32 v5, 0
.LBB4_2:                                ; =>This Inner Loop Header: Depth=1
	v_add_u32_e32 v0, s12, v0
	v_cmp_le_u32_e32 vcc, s9, v0
	v_add_u32_e32 v8, s13, v1
	ds_write_b32 v1, v5
	v_add_u32_e32 v1, s16, v1
	s_or_b64 s[10:11], vcc, s[10:11]
	ds_write_b32 v8, v4
	s_andn2_b64 exec, exec, s[10:11]
	s_cbranch_execnz .LBB4_2
.LBB4_3:
	s_or_b64 exec, exec, s[2:3]
	v_cvt_f32_u32_e32 v0, s1
	s_load_dwordx16 s[16:31], s[4:5], 0x8
	s_sub_i32 s2, 0, s1
	s_waitcnt lgkmcnt(0)
	v_rcp_iflag_f32_e32 v0, v0
	s_barrier
	s_add_i32 s3, s20, s1
	s_add_i32 s3, s3, -1
	v_mul_f32_e32 v0, 0x4f7ffffe, v0
	v_cvt_u32_f32_e32 v0, v0
	v_cvt_f32_u32_e32 v1, s16
	v_readfirstlane_b32 s10, v0
	s_mul_i32 s2, s2, s10
	s_mul_hi_u32 s11, s10, s2
	v_cvt_f32_u32_e32 v0, s0
	s_add_i32 s10, s10, s11
	s_mul_hi_u32 s10, s3, s10
	s_mul_i32 s11, s10, s1
	s_sub_i32 s3, s3, s11
	v_rcp_iflag_f32_e32 v0, v0
	s_add_i32 s11, s10, 1
	s_sub_i32 s12, s3, s1
	v_rcp_iflag_f32_e32 v1, v1
	s_cmp_ge_u32 s3, s1
	s_cselect_b32 s10, s11, s10
	s_cselect_b32 s3, s12, s3
	v_mul_f32_e32 v0, 0x4f7ffffe, v0
	s_add_i32 s11, s10, 1
	v_cvt_u32_f32_e32 v0, v0
	s_cmp_ge_u32 s3, s1
	v_mul_f32_e32 v1, 0x4f7ffffe, v1
	s_cselect_b32 s3, s11, s10
	v_cvt_u32_f32_e32 v1, v1
	s_mul_i32 s8, s3, s8
	v_add_u32_e32 v3, s8, v3
	v_readfirstlane_b32 s1, v0
	v_add_u32_e32 v0, s3, v3
	v_min_i32_e32 v16, s20, v0
	v_readfirstlane_b32 s2, v1
	v_cmp_lt_i32_e32 vcc, v3, v16
	s_and_saveexec_b64 s[10:11], vcc
	s_cbranch_execz .LBB4_74
; %bb.4:
	s_sub_i32 s3, 0, s16
	s_mul_i32 s3, s3, s2
	s_mul_hi_u32 s3, s2, s3
	s_add_i32 s2, s2, s3
	s_add_i32 s3, s21, s0
	s_add_i32 s40, s3, -1
	s_sub_i32 s3, 0, s0
	s_mul_i32 s3, s3, s1
	s_mul_hi_u32 s3, s1, s3
	s_mul_hi_u32 s2, s6, s2
	s_add_i32 s1, s1, s3
	s_lshl_b32 s3, s9, 2
	s_add_i32 s41, s3, 0
	s_mul_i32 s3, s2, s16
	s_sub_i32 s3, s6, s3
	s_add_i32 s8, s2, 1
	s_sub_i32 s9, s3, s16
	s_cmp_ge_u32 s3, s16
	s_cselect_b32 s2, s8, s2
	s_cselect_b32 s3, s9, s3
	s_add_i32 s8, s2, 1
	s_cmp_ge_u32 s3, s16
	s_cselect_b32 s2, s8, s2
	s_mul_i32 s3, s2, s16
	s_mul_i32 s2, s2, s15
	v_add_u32_e32 v0, s2, v6
	s_mul_i32 s2, s20, s17
	s_sub_i32 s6, s6, s3
	s_mul_i32 s2, s2, s21
	s_mul_i32 s12, s2, s6
	s_load_dwordx2 s[2:3], s[4:5], 0x0
	s_mul_i32 s8, s6, s30
	s_ashr_i32 s9, s8, 31
	s_mul_hi_u32 s1, s40, s1
	s_ashr_i32 s13, s12, 31
	s_lshl_b64 s[34:35], s[8:9], 2
	s_load_dwordx4 s[8:11], s[4:5], 0x58
	s_waitcnt lgkmcnt(0)
	s_add_u32 s16, s2, s34
	s_mul_i32 s2, s1, s0
	s_addc_u32 s57, s3, s35
	s_sub_i32 s2, s40, s2
	s_add_i32 s3, s1, 1
	s_sub_i32 s4, s2, s0
	s_cmp_ge_u32 s2, s0
	s_cselect_b32 s1, s3, s1
	s_cselect_b32 s2, s4, s2
	s_add_i32 s3, s1, 1
	s_cmp_ge_u32 s2, s0
	s_cselect_b32 s0, s3, s1
	s_mul_i32 s1, s0, s7
	v_add_u32_e32 v2, s1, v2
	v_add_u32_e32 v4, s0, v2
	s_add_i32 s0, s22, -1
	s_add_i32 s2, s23, -1
	s_mul_i32 s58, s0, s28
	s_mul_i32 s59, s2, s29
	s_add_i32 s58, s58, 1
	s_add_i32 s59, s59, 1
	s_max_i32 s2, s22, s23
	v_mul_lo_u32 v1, s14, v7
	s_cmp_lt_i32 s2, 4
	s_mul_i32 s14, s15, s38
	s_cselect_b64 s[2:3], -1, 0
	s_cmp_ge_u32 s14, s17
	s_cselect_b64 s[4:5], -1, 0
	s_max_u32 s60, s28, 1
	v_cvt_f32_u32_e32 v11, s60
	v_min_i32_e32 v17, s21, v4
	v_mul_lo_u32 v4, v0, s31
	v_ashrrev_i32_e32 v5, 31, v4
	v_lshlrev_b64 v[8:9], 2, v[4:5]
	v_add_co_u32_e32 v5, vcc, s16, v8
	v_rcp_iflag_f32_e32 v8, v11
	v_lshlrev_b32_e32 v6, 2, v6
	v_lshlrev_b32_e32 v1, 2, v1
	s_and_b64 s[22:23], s[2:3], s[4:5]
	v_mul_f32_e32 v8, 0x4f7ffffe, v8
	v_cvt_u32_f32_e32 v8, v8
	v_add_u32_e32 v20, 0, v6
	s_sub_i32 s4, 0, s60
	v_add3_u32 v19, s41, v1, v6
	v_add_u32_e32 v21, v20, v1
	v_mul_lo_u32 v1, s4, v8
	v_mul_hi_u32 v1, v8, v1
	v_add_u32_e32 v22, v8, v1
	s_mul_i32 s4, s56, s33
	v_lshlrev_b32_e32 v1, 2, v7
	v_lshl_add_u32 v1, s4, 2, v1
	v_mul_lo_u32 v1, s39, v1
	v_mul_lo_u32 v24, v1, s15
	v_mul_lo_u32 v1, s39, v7
	s_lshl_b32 s61, s29, 1
	s_lshl_b32 s63, s15, 2
	v_mul_lo_u32 v1, v1, s15
	s_lshl_b64 s[4:5], s[12:13], 2
	v_mov_b32_e32 v10, s57
	v_lshlrev_b32_e32 v25, 2, v1
	v_ashrrev_i32_e32 v1, 31, v0
	s_add_u32 s4, s8, s4
	v_addc_co_u32_e32 v18, vcc, v10, v9, vcc
	v_lshlrev_b64 v[6:7], 2, v[0:1]
	s_addc_u32 s5, s9, s5
	s_mul_i32 s62, s38, s31
	v_mov_b32_e32 v8, s5
	v_add_co_u32_e32 v26, vcc, s4, v6
	s_mul_i32 s62, s62, s15
	v_addc_co_u32_e32 v27, vcc, v8, v7, vcc
	v_mad_u64_u32 v[6:7], s[4:5], s21, v3, v[2:3]
	s_ashr_i32 s15, s14, 31
	s_mul_i32 s64, s21, s17
	s_lshl_b64 s[20:21], s[14:15], 2
	s_lshl_b64 s[4:5], s[12:13], 3
	s_add_u32 s4, s10, s4
	v_mul_lo_u32 v28, s17, v6
	v_lshlrev_b64 v[6:7], 3, v[0:1]
	s_addc_u32 s5, s11, s5
	v_mov_b32_e32 v8, s5
	v_add_co_u32_e32 v1, vcc, s4, v6
	v_cmp_lt_i32_e64 s[0:1], v2, v17
	v_cmp_gt_i32_e64 s[2:3], s17, v0
	v_mov_b32_e32 v23, 0
	s_mul_i32 s64, s64, s33
	s_mul_i32 s65, s17, s56
	v_addc_co_u32_e32 v29, vcc, v8, v7, vcc
	s_lshl_b64 s[30:31], s[14:15], 3
	s_mov_b64 s[34:35], 0
	v_mov_b32_e32 v30, 0xff800000
	s_branch .LBB4_6
.LBB4_5:                                ;   in Loop: Header=BB4_6 Depth=1
	s_or_b64 exec, exec, s[38:39]
	v_add_u32_e32 v3, s33, v3
	v_cmp_ge_i32_e32 vcc, v3, v16
	s_or_b64 s[34:35], vcc, s[34:35]
	v_add_u32_e32 v28, s64, v28
	s_andn2_b64 exec, exec, s[34:35]
	s_cbranch_execz .LBB4_74
.LBB4_6:                                ; =>This Loop Header: Depth=1
                                        ;     Child Loop BB4_9 Depth 2
                                        ;       Child Loop BB4_10 Depth 3
                                        ;       Child Loop BB4_63 Depth 3
                                        ;         Child Loop BB4_66 Depth 4
                                        ;           Child Loop BB4_69 Depth 5
                                        ;       Child Loop BB4_73 Depth 3
	s_and_saveexec_b64 s[38:39], s[0:1]
	s_cbranch_execz .LBB4_5
; %bb.7:                                ;   in Loop: Header=BB4_6 Depth=1
	v_mul_lo_u32 v6, v3, s24
	v_subrev_u32_e32 v6, s26, v6
	v_add_u32_e32 v7, s58, v6
	v_min_i32_e32 v31, s18, v7
	s_mov_b64 s[40:41], 0
	v_mov_b32_e32 v8, v28
	v_mov_b32_e32 v32, v2
	s_branch .LBB4_9
.LBB4_8:                                ;   in Loop: Header=BB4_9 Depth=2
	s_or_b64 exec, exec, s[4:5]
	v_add_u32_e32 v32, s56, v32
	v_cmp_ge_i32_e32 vcc, v32, v17
	s_or_b64 s[40:41], vcc, s[40:41]
	v_add_u32_e32 v8, s65, v8
	s_andn2_b64 exec, exec, s[40:41]
	s_cbranch_execz .LBB4_5
.LBB4_9:                                ;   Parent Loop BB4_6 Depth=1
                                        ; =>  This Loop Header: Depth=2
                                        ;       Child Loop BB4_10 Depth 3
                                        ;       Child Loop BB4_63 Depth 3
                                        ;         Child Loop BB4_66 Depth 4
                                        ;           Child Loop BB4_69 Depth 5
                                        ;       Child Loop BB4_73 Depth 3
	v_mul_lo_u32 v7, v32, s25
	v_subrev_u32_e32 v7, s27, v7
	s_mov_b64 s[4:5], 0
	v_mov_b32_e32 v34, v7
.LBB4_10:                               ;   Parent Loop BB4_6 Depth=1
                                        ;     Parent Loop BB4_9 Depth=2
                                        ; =>    This Inner Loop Header: Depth=3
	v_mov_b32_e32 v9, v34
	v_cmp_lt_i32_e32 vcc, -1, v9
	s_or_b64 s[4:5], vcc, s[4:5]
	v_add_u32_e32 v34, s29, v9
	s_andn2_b64 exec, exec, s[4:5]
	s_cbranch_execnz .LBB4_10
; %bb.11:                               ;   in Loop: Header=BB4_9 Depth=2
	s_or_b64 exec, exec, s[4:5]
	v_lshrrev_b32_e32 v11, 31, v6
	s_waitcnt vmcnt(0)
	v_max_i32_e32 v10, 0, v6
	v_add_u32_e32 v12, v6, v11
	v_sub_u32_e32 v10, v10, v12
	v_mul_hi_u32 v12, v10, v22
	v_mul_lo_u32 v13, v12, s60
	v_sub_u32_e32 v10, v10, v13
	v_add_u32_e32 v13, 1, v12
	v_cmp_le_u32_e32 vcc, s60, v10
	v_cndmask_b32_e32 v12, v12, v13, vcc
	v_subrev_u32_e32 v13, s60, v10
	v_cndmask_b32_e32 v10, v10, v13, vcc
	v_add_u32_e32 v13, 1, v12
	v_cmp_le_u32_e32 vcc, s60, v10
	v_cndmask_b32_e32 v10, v12, v13, vcc
	v_add_u32_e32 v7, s59, v7
	v_add_u32_e32 v10, v11, v10
	v_min_i32_e32 v33, s19, v7
	v_mad_u64_u32 v[6:7], s[4:5], v10, s28, v[6:7]
	v_cmp_lt_i32_e64 s[4:5], v6, v31
	s_mov_b64 s[6:7], -1
	s_and_b64 vcc, exec, s[22:23]
	s_cbranch_vccnz .LBB4_14
; %bb.12:                               ;   in Loop: Header=BB4_9 Depth=2
	s_and_b64 vcc, exec, s[6:7]
	s_cbranch_vccnz .LBB4_60
.LBB4_13:                               ;   in Loop: Header=BB4_9 Depth=2
	s_and_saveexec_b64 s[4:5], s[2:3]
	s_cbranch_execz .LBB4_8
	s_branch .LBB4_72
.LBB4_14:                               ;   in Loop: Header=BB4_9 Depth=2
	v_mul_lo_u32 v10, v6, s36
	v_ashrrev_i32_e32 v11, 31, v10
	v_lshlrev_b64 v[10:11], 2, v[10:11]
	v_add_co_u32_e32 v37, vcc, v5, v10
	v_addc_co_u32_e32 v39, vcc, v18, v11, vcc
	v_cmp_lt_i32_e32 vcc, v9, v33
	s_and_b64 s[6:7], s[4:5], vcc
	v_mul_lo_u32 v10, v9, s37
	s_and_b64 s[42:43], s[2:3], s[6:7]
	v_mov_b32_e32 v35, 0
	v_ashrrev_i32_e32 v11, 31, v10
	v_mov_b32_e32 v38, 0
	s_and_saveexec_b64 s[8:9], s[42:43]
	s_cbranch_execz .LBB4_16
; %bb.15:                               ;   in Loop: Header=BB4_9 Depth=2
	v_lshlrev_b64 v[12:13], 2, v[10:11]
	v_add_co_u32_e64 v12, s[6:7], v37, v12
	v_addc_co_u32_e64 v13, s[6:7], v39, v13, s[6:7]
	global_load_dword v38, v[12:13], off
.LBB4_16:                               ;   in Loop: Header=BB4_9 Depth=2
	s_or_b64 exec, exec, s[8:9]
	v_cmp_lt_i32_e64 s[6:7], v34, v33
	s_and_b64 s[8:9], s[4:5], s[6:7]
	v_mul_lo_u32 v12, v34, s37
	s_and_b64 s[44:45], s[2:3], s[8:9]
	v_ashrrev_i32_e32 v13, 31, v12
	s_and_saveexec_b64 s[10:11], s[44:45]
	s_cbranch_execz .LBB4_18
; %bb.17:                               ;   in Loop: Header=BB4_9 Depth=2
	v_lshlrev_b64 v[14:15], 2, v[12:13]
	v_add_co_u32_e64 v14, s[8:9], v37, v14
	v_addc_co_u32_e64 v15, s[8:9], v39, v15, s[8:9]
	global_load_dword v35, v[14:15], off
.LBB4_18:                               ;   in Loop: Header=BB4_9 Depth=2
	s_or_b64 exec, exec, s[10:11]
	v_add_u32_e32 v7, s61, v9
	v_cmp_lt_i32_e64 s[8:9], v7, v33
	s_and_b64 s[10:11], s[4:5], s[8:9]
	v_mul_lo_u32 v14, v7, s37
	s_and_b64 s[46:47], s[2:3], s[10:11]
	v_mov_b32_e32 v36, 0
	v_ashrrev_i32_e32 v15, 31, v14
	v_mov_b32_e32 v40, 0
	s_and_saveexec_b64 s[12:13], s[46:47]
	s_cbranch_execz .LBB4_20
; %bb.19:                               ;   in Loop: Header=BB4_9 Depth=2
	v_lshlrev_b64 v[40:41], 2, v[14:15]
	v_add_co_u32_e64 v40, s[10:11], v37, v40
	v_addc_co_u32_e64 v41, s[10:11], v39, v41, s[10:11]
	global_load_dword v40, v[40:41], off
.LBB4_20:                               ;   in Loop: Header=BB4_9 Depth=2
	s_or_b64 exec, exec, s[12:13]
	v_add_u32_e32 v41, s28, v6
	v_mul_lo_u32 v42, v41, s36
	v_ashrrev_i32_e32 v43, 31, v42
	v_lshlrev_b64 v[42:43], 2, v[42:43]
	v_add_co_u32_e64 v39, s[12:13], v5, v42
	v_cmp_lt_i32_e64 s[10:11], v41, v31
	v_addc_co_u32_e64 v43, s[12:13], v18, v43, s[12:13]
	s_and_b64 s[12:13], s[10:11], vcc
	s_and_b64 s[48:49], s[2:3], s[12:13]
	s_and_saveexec_b64 s[50:51], s[48:49]
	s_cbranch_execz .LBB4_22
; %bb.21:                               ;   in Loop: Header=BB4_9 Depth=2
	v_lshlrev_b64 v[36:37], 2, v[10:11]
	v_add_co_u32_e64 v36, s[12:13], v39, v36
	v_addc_co_u32_e64 v37, s[12:13], v43, v37, s[12:13]
	global_load_dword v36, v[36:37], off
.LBB4_22:                               ;   in Loop: Header=BB4_9 Depth=2
	s_or_b64 exec, exec, s[50:51]
	s_and_b64 s[12:13], s[10:11], s[6:7]
	s_and_b64 s[50:51], s[2:3], s[12:13]
	v_mov_b32_e32 v37, 0
	v_mov_b32_e32 v42, 0
	s_and_saveexec_b64 s[52:53], s[50:51]
	s_cbranch_execz .LBB4_24
; %bb.23:                               ;   in Loop: Header=BB4_9 Depth=2
	v_lshlrev_b64 v[44:45], 2, v[12:13]
	v_add_co_u32_e64 v44, s[12:13], v39, v44
	v_addc_co_u32_e64 v45, s[12:13], v43, v45, s[12:13]
	global_load_dword v42, v[44:45], off
.LBB4_24:                               ;   in Loop: Header=BB4_9 Depth=2
	s_or_b64 exec, exec, s[52:53]
	s_and_b64 s[10:11], s[10:11], s[8:9]
	s_and_b64 s[52:53], s[2:3], s[10:11]
	s_and_saveexec_b64 s[12:13], s[52:53]
	s_cbranch_execz .LBB4_26
; %bb.25:                               ;   in Loop: Header=BB4_9 Depth=2
	v_lshlrev_b64 v[44:45], 2, v[14:15]
	v_add_co_u32_e64 v44, s[10:11], v39, v44
	v_addc_co_u32_e64 v45, s[10:11], v43, v45, s[10:11]
	global_load_dword v37, v[44:45], off
.LBB4_26:                               ;   in Loop: Header=BB4_9 Depth=2
	s_or_b64 exec, exec, s[12:13]
	v_add_u32_e32 v43, s28, v41
	v_mul_lo_u32 v44, v43, s36
	v_ashrrev_i32_e32 v45, 31, v44
	v_lshlrev_b64 v[46:47], 2, v[44:45]
	v_add_co_u32_e64 v45, s[12:13], v5, v46
	v_cmp_lt_i32_e64 s[10:11], v43, v31
	v_addc_co_u32_e64 v46, s[12:13], v18, v47, s[12:13]
	s_and_b64 s[12:13], s[10:11], vcc
	s_and_b64 s[12:13], s[2:3], s[12:13]
	v_mov_b32_e32 v39, 0
	v_mov_b32_e32 v44, 0
	s_and_saveexec_b64 s[54:55], s[12:13]
	s_cbranch_execz .LBB4_28
; %bb.27:                               ;   in Loop: Header=BB4_9 Depth=2
	v_lshlrev_b64 v[10:11], 2, v[10:11]
	v_add_co_u32_e32 v10, vcc, v45, v10
	v_addc_co_u32_e32 v11, vcc, v46, v11, vcc
	global_load_dword v44, v[10:11], off
.LBB4_28:                               ;   in Loop: Header=BB4_9 Depth=2
	s_or_b64 exec, exec, s[54:55]
	s_and_b64 s[6:7], s[10:11], s[6:7]
	s_and_b64 s[54:55], s[2:3], s[6:7]
	s_and_saveexec_b64 s[6:7], s[54:55]
	s_cbranch_execz .LBB4_30
; %bb.29:                               ;   in Loop: Header=BB4_9 Depth=2
	v_lshlrev_b64 v[10:11], 2, v[12:13]
	v_add_co_u32_e32 v10, vcc, v45, v10
	v_addc_co_u32_e32 v11, vcc, v46, v11, vcc
	global_load_dword v39, v[10:11], off
.LBB4_30:                               ;   in Loop: Header=BB4_9 Depth=2
	s_or_b64 exec, exec, s[6:7]
	s_and_b64 s[6:7], s[10:11], s[8:9]
	s_and_b64 s[8:9], s[2:3], s[6:7]
	v_mov_b32_e32 v10, 0
	s_and_saveexec_b64 s[6:7], s[8:9]
	s_cbranch_execz .LBB4_32
; %bb.31:                               ;   in Loop: Header=BB4_9 Depth=2
	v_lshlrev_b64 v[10:11], 2, v[14:15]
	v_add_co_u32_e32 v10, vcc, v45, v10
	v_addc_co_u32_e32 v11, vcc, v46, v11, vcc
	global_load_dword v10, v[10:11], off
.LBB4_32:                               ;   in Loop: Header=BB4_9 Depth=2
	s_or_b64 exec, exec, s[6:7]
	v_mul_lo_u32 v11, v6, s19
	s_and_saveexec_b64 s[10:11], s[42:43]
	s_cbranch_execz .LBB4_35
; %bb.33:                               ;   in Loop: Header=BB4_9 Depth=2
	ds_read_b32 v12, v19
	s_waitcnt vmcnt(0)
	v_cmp_u_f32_e64 s[6:7], v38, v38
	s_waitcnt lgkmcnt(0)
	v_cmp_gt_f32_e32 vcc, v38, v12
	s_or_b64 s[6:7], s[6:7], vcc
	s_and_b64 exec, exec, s[6:7]
	s_cbranch_execz .LBB4_35
; %bb.34:                               ;   in Loop: Header=BB4_9 Depth=2
	v_add_u32_e32 v12, v9, v11
	ds_write_b32 v19, v38
	ds_write_b32 v21, v12
.LBB4_35:                               ;   in Loop: Header=BB4_9 Depth=2
	s_or_b64 exec, exec, s[10:11]
	s_and_saveexec_b64 s[10:11], s[44:45]
	s_cbranch_execz .LBB4_38
; %bb.36:                               ;   in Loop: Header=BB4_9 Depth=2
	ds_read_b32 v12, v19
	s_waitcnt vmcnt(0)
	v_cmp_u_f32_e64 s[6:7], v35, v35
	s_waitcnt lgkmcnt(0)
	v_cmp_gt_f32_e32 vcc, v35, v12
	s_or_b64 s[6:7], s[6:7], vcc
	s_and_b64 exec, exec, s[6:7]
	s_cbranch_execz .LBB4_38
; %bb.37:                               ;   in Loop: Header=BB4_9 Depth=2
	v_add_u32_e32 v12, v34, v11
	ds_write_b32 v19, v35
	ds_write_b32 v21, v12
.LBB4_38:                               ;   in Loop: Header=BB4_9 Depth=2
	s_or_b64 exec, exec, s[10:11]
	s_and_saveexec_b64 s[10:11], s[46:47]
	s_cbranch_execz .LBB4_41
; %bb.39:                               ;   in Loop: Header=BB4_9 Depth=2
	ds_read_b32 v12, v19
	s_waitcnt vmcnt(0)
	v_cmp_u_f32_e64 s[6:7], v40, v40
	s_waitcnt lgkmcnt(0)
	v_cmp_gt_f32_e32 vcc, v40, v12
	s_or_b64 s[6:7], s[6:7], vcc
	s_and_b64 exec, exec, s[6:7]
	s_cbranch_execz .LBB4_41
; %bb.40:                               ;   in Loop: Header=BB4_9 Depth=2
	v_add_u32_e32 v11, v7, v11
	ds_write_b32 v19, v40
	ds_write_b32 v21, v11
.LBB4_41:                               ;   in Loop: Header=BB4_9 Depth=2
	s_or_b64 exec, exec, s[10:11]
	v_mul_lo_u32 v11, v41, s19
	s_and_saveexec_b64 s[10:11], s[48:49]
	s_cbranch_execz .LBB4_44
; %bb.42:                               ;   in Loop: Header=BB4_9 Depth=2
	ds_read_b32 v12, v19
	s_waitcnt vmcnt(0)
	v_cmp_u_f32_e64 s[6:7], v36, v36
	s_waitcnt lgkmcnt(0)
	v_cmp_gt_f32_e32 vcc, v36, v12
	s_or_b64 s[6:7], s[6:7], vcc
	s_and_b64 exec, exec, s[6:7]
	s_cbranch_execz .LBB4_44
; %bb.43:                               ;   in Loop: Header=BB4_9 Depth=2
	v_add_u32_e32 v12, v9, v11
	ds_write_b32 v19, v36
	ds_write_b32 v21, v12
.LBB4_44:                               ;   in Loop: Header=BB4_9 Depth=2
	s_or_b64 exec, exec, s[10:11]
	s_and_saveexec_b64 s[10:11], s[50:51]
	s_cbranch_execz .LBB4_47
; %bb.45:                               ;   in Loop: Header=BB4_9 Depth=2
	ds_read_b32 v12, v19
	s_waitcnt vmcnt(0)
	v_cmp_u_f32_e64 s[6:7], v42, v42
	s_waitcnt lgkmcnt(0)
	v_cmp_gt_f32_e32 vcc, v42, v12
	s_or_b64 s[6:7], s[6:7], vcc
	s_and_b64 exec, exec, s[6:7]
	s_cbranch_execz .LBB4_47
; %bb.46:                               ;   in Loop: Header=BB4_9 Depth=2
	v_add_u32_e32 v12, v34, v11
	ds_write_b32 v19, v42
	ds_write_b32 v21, v12
.LBB4_47:                               ;   in Loop: Header=BB4_9 Depth=2
	s_or_b64 exec, exec, s[10:11]
	s_and_saveexec_b64 s[10:11], s[52:53]
	s_cbranch_execz .LBB4_50
; %bb.48:                               ;   in Loop: Header=BB4_9 Depth=2
	ds_read_b32 v12, v19
	s_waitcnt vmcnt(0)
	v_cmp_u_f32_e64 s[6:7], v37, v37
	s_waitcnt lgkmcnt(0)
	v_cmp_gt_f32_e32 vcc, v37, v12
	s_or_b64 s[6:7], s[6:7], vcc
	s_and_b64 exec, exec, s[6:7]
	s_cbranch_execz .LBB4_50
; %bb.49:                               ;   in Loop: Header=BB4_9 Depth=2
	v_add_u32_e32 v11, v7, v11
	ds_write_b32 v19, v37
	ds_write_b32 v21, v11
.LBB4_50:                               ;   in Loop: Header=BB4_9 Depth=2
	s_or_b64 exec, exec, s[10:11]
	v_mul_lo_u32 v11, v43, s19
	s_and_saveexec_b64 s[10:11], s[12:13]
	s_cbranch_execz .LBB4_53
; %bb.51:                               ;   in Loop: Header=BB4_9 Depth=2
	ds_read_b32 v12, v19
	s_waitcnt vmcnt(0)
	v_cmp_u_f32_e64 s[6:7], v44, v44
	s_waitcnt lgkmcnt(0)
	v_cmp_gt_f32_e32 vcc, v44, v12
	s_or_b64 s[6:7], s[6:7], vcc
	s_and_b64 exec, exec, s[6:7]
	s_cbranch_execz .LBB4_53
; %bb.52:                               ;   in Loop: Header=BB4_9 Depth=2
	v_add_u32_e32 v12, v9, v11
	ds_write_b32 v19, v44
	ds_write_b32 v21, v12
.LBB4_53:                               ;   in Loop: Header=BB4_9 Depth=2
	s_or_b64 exec, exec, s[10:11]
	s_and_saveexec_b64 s[10:11], s[54:55]
	s_cbranch_execz .LBB4_56
; %bb.54:                               ;   in Loop: Header=BB4_9 Depth=2
	ds_read_b32 v12, v19
	s_waitcnt vmcnt(0)
	v_cmp_u_f32_e64 s[6:7], v39, v39
	s_waitcnt lgkmcnt(0)
	v_cmp_gt_f32_e32 vcc, v39, v12
	s_or_b64 s[6:7], s[6:7], vcc
	s_and_b64 exec, exec, s[6:7]
	s_cbranch_execz .LBB4_56
; %bb.55:                               ;   in Loop: Header=BB4_9 Depth=2
	v_add_u32_e32 v12, v34, v11
	ds_write_b32 v19, v39
	ds_write_b32 v21, v12
.LBB4_56:                               ;   in Loop: Header=BB4_9 Depth=2
	s_or_b64 exec, exec, s[10:11]
	s_and_saveexec_b64 s[10:11], s[8:9]
	s_cbranch_execz .LBB4_59
; %bb.57:                               ;   in Loop: Header=BB4_9 Depth=2
	ds_read_b32 v12, v19
	s_waitcnt vmcnt(0)
	v_cmp_u_f32_e64 s[6:7], v10, v10
	s_waitcnt lgkmcnt(0)
	v_cmp_gt_f32_e32 vcc, v10, v12
	s_or_b64 s[6:7], s[6:7], vcc
	s_and_b64 exec, exec, s[6:7]
	s_cbranch_execz .LBB4_59
; %bb.58:                               ;   in Loop: Header=BB4_9 Depth=2
	v_add_u32_e32 v7, v7, v11
	ds_write_b32 v19, v10
	ds_write_b32 v21, v7
.LBB4_59:                               ;   in Loop: Header=BB4_9 Depth=2
	s_or_b64 exec, exec, s[10:11]
	s_branch .LBB4_13
.LBB4_60:                               ;   in Loop: Header=BB4_9 Depth=2
	s_and_saveexec_b64 s[8:9], s[4:5]
	s_cbranch_execz .LBB4_71
; %bb.61:                               ;   in Loop: Header=BB4_9 Depth=2
	v_cmp_lt_i32_e32 vcc, v9, v33
	s_mov_b64 s[10:11], 0
	v_mov_b32_e32 v7, v6
	s_branch .LBB4_63
.LBB4_62:                               ;   in Loop: Header=BB4_63 Depth=3
	s_or_b64 exec, exec, s[12:13]
	v_add_u32_e32 v7, s28, v7
	v_cmp_ge_i32_e64 s[4:5], v7, v31
	s_or_b64 s[10:11], s[4:5], s[10:11]
	s_andn2_b64 exec, exec, s[10:11]
	s_cbranch_execz .LBB4_71
.LBB4_63:                               ;   Parent Loop BB4_6 Depth=1
                                        ;     Parent Loop BB4_9 Depth=2
                                        ; =>    This Loop Header: Depth=3
                                        ;         Child Loop BB4_66 Depth 4
                                        ;           Child Loop BB4_69 Depth 5
	s_and_saveexec_b64 s[12:13], vcc
	s_cbranch_execz .LBB4_62
; %bb.64:                               ;   in Loop: Header=BB4_63 Depth=3
	s_waitcnt vmcnt(0)
	v_mul_lo_u32 v10, v7, s36
	v_ashrrev_i32_e32 v11, 31, v10
	v_lshlrev_b64 v[10:11], 2, v[10:11]
	v_mov_b32_e32 v13, s57
	v_add_co_u32_e64 v12, s[4:5], s16, v10
	v_addc_co_u32_e64 v13, s[4:5], v13, v11, s[4:5]
	v_mul_lo_u32 v14, v7, s19
	s_mov_b64 s[42:43], 0
	v_mov_b32_e32 v15, v9
	s_branch .LBB4_66
.LBB4_65:                               ;   in Loop: Header=BB4_66 Depth=4
	s_or_b64 exec, exec, s[44:45]
	v_add_u32_e32 v15, s29, v15
	v_cmp_ge_i32_e64 s[4:5], v15, v33
	s_or_b64 s[42:43], s[4:5], s[42:43]
	s_andn2_b64 exec, exec, s[42:43]
	s_cbranch_execz .LBB4_62
.LBB4_66:                               ;   Parent Loop BB4_6 Depth=1
                                        ;     Parent Loop BB4_9 Depth=2
                                        ;       Parent Loop BB4_63 Depth=3
                                        ; =>      This Loop Header: Depth=4
                                        ;           Child Loop BB4_69 Depth 5
	s_and_saveexec_b64 s[44:45], s[2:3]
	s_cbranch_execz .LBB4_65
; %bb.67:                               ;   in Loop: Header=BB4_66 Depth=4
	v_mul_lo_u32 v10, v15, s37
	v_ashrrev_i32_e32 v11, 31, v10
	v_lshlrev_b64 v[10:11], 2, v[10:11]
	v_add_co_u32_e64 v34, s[4:5], v12, v10
	v_addc_co_u32_e64 v35, s[4:5], v13, v11, s[4:5]
	v_add_u32_e32 v36, v15, v14
	s_mov_b64 s[46:47], 0
	v_mov_b32_e32 v37, v20
	v_mov_b32_e32 v10, v4
	;; [unrolled: 1-line block ×3, first 2 shown]
	s_branch .LBB4_69
.LBB4_68:                               ;   in Loop: Header=BB4_69 Depth=5
	s_or_b64 exec, exec, s[4:5]
	v_add_u32_e32 v38, s14, v38
	v_cmp_le_i32_e64 s[4:5], s17, v38
	v_add_u32_e32 v10, s62, v10
	s_or_b64 s[46:47], s[4:5], s[46:47]
	v_add_u32_e32 v37, s63, v37
	s_andn2_b64 exec, exec, s[46:47]
	s_cbranch_execz .LBB4_65
.LBB4_69:                               ;   Parent Loop BB4_6 Depth=1
                                        ;     Parent Loop BB4_9 Depth=2
                                        ;       Parent Loop BB4_63 Depth=3
                                        ;         Parent Loop BB4_66 Depth=4
                                        ; =>        This Inner Loop Header: Depth=5
	v_ashrrev_i32_e32 v11, 31, v10
	v_lshlrev_b64 v[40:41], 2, v[10:11]
	v_add_co_u32_e64 v40, s[4:5], v34, v40
	v_addc_co_u32_e64 v41, s[4:5], v35, v41, s[4:5]
	global_load_dword v11, v[40:41], off
	v_add_u32_e32 v39, v37, v24
	ds_read_b32 v40, v39
	s_waitcnt vmcnt(0) lgkmcnt(0)
	v_cmp_gt_f32_e64 s[4:5], v11, v40
	v_cmp_u_f32_e64 s[6:7], v11, v11
	s_or_b64 s[6:7], s[6:7], s[4:5]
	s_and_saveexec_b64 s[4:5], s[6:7]
	s_cbranch_execz .LBB4_68
; %bb.70:                               ;   in Loop: Header=BB4_69 Depth=5
	ds_write_b32 v39, v11
	v_add_u32_e32 v11, v37, v25
	ds_write_b32 v11, v36
	s_branch .LBB4_68
.LBB4_71:                               ;   in Loop: Header=BB4_9 Depth=2
	s_or_b64 exec, exec, s[8:9]
	s_and_saveexec_b64 s[4:5], s[2:3]
	s_cbranch_execz .LBB4_8
.LBB4_72:                               ;   in Loop: Header=BB4_9 Depth=2
	v_ashrrev_i32_e32 v9, 31, v8
	s_waitcnt vmcnt(0)
	v_lshlrev_b64 v[10:11], 2, v[8:9]
	v_add_co_u32_e32 v10, vcc, v26, v10
	v_addc_co_u32_e32 v11, vcc, v27, v11, vcc
	v_lshlrev_b64 v[12:13], 3, v[8:9]
	v_add_co_u32_e32 v12, vcc, v1, v12
	v_addc_co_u32_e32 v13, vcc, v29, v13, vcc
	s_mov_b64 s[6:7], 0
	v_mov_b32_e32 v7, v20
	v_mov_b32_e32 v9, v0
.LBB4_73:                               ;   Parent Loop BB4_6 Depth=1
                                        ;     Parent Loop BB4_9 Depth=2
                                        ; =>    This Inner Loop Header: Depth=3
	v_add_u32_e32 v15, v7, v24
	v_add_u32_e32 v33, v7, v25
	ds_read_b32 v36, v15
	ds_read_b32 v14, v33
	v_add_u32_e32 v9, s14, v9
	v_cmp_le_i32_e32 vcc, s17, v9
	v_mov_b32_e32 v34, s21
	ds_write_b32 v15, v30
	ds_write_b32 v33, v23
	s_or_b64 s[6:7], vcc, s[6:7]
	s_waitcnt lgkmcnt(3)
	global_store_dword v[10:11], v36, off
	v_add_co_u32_e32 v10, vcc, s20, v10
	s_waitcnt lgkmcnt(2)
	v_ashrrev_i32_e32 v15, 31, v14
	v_addc_co_u32_e32 v11, vcc, v11, v34, vcc
	v_mov_b32_e32 v35, s31
	global_store_dwordx2 v[12:13], v[14:15], off
	v_add_co_u32_e32 v12, vcc, s30, v12
	v_add_u32_e32 v7, s63, v7
	v_addc_co_u32_e32 v13, vcc, v13, v35, vcc
	s_andn2_b64 exec, exec, s[6:7]
	s_cbranch_execnz .LBB4_73
	s_branch .LBB4_8
.LBB4_74:
	s_endpgm
	.section	.rodata,"a",@progbits
	.p2align	6, 0x0
	.amdhsa_kernel _ZN2at6native12_GLOBAL__N_121max_pool_forward_nhwcIfiEEvPKT_iT0_S6_S6_S6_S6_iiiiiiiiS6_S6_S6_S6_iiPS3_Pl
		.amdhsa_group_segment_fixed_size 0
		.amdhsa_private_segment_fixed_size 0
		.amdhsa_kernarg_size 360
		.amdhsa_user_sgpr_count 6
		.amdhsa_user_sgpr_private_segment_buffer 1
		.amdhsa_user_sgpr_dispatch_ptr 0
		.amdhsa_user_sgpr_queue_ptr 0
		.amdhsa_user_sgpr_kernarg_segment_ptr 1
		.amdhsa_user_sgpr_dispatch_id 0
		.amdhsa_user_sgpr_flat_scratch_init 0
		.amdhsa_user_sgpr_kernarg_preload_length 0
		.amdhsa_user_sgpr_kernarg_preload_offset 0
		.amdhsa_user_sgpr_private_segment_size 0
		.amdhsa_uses_dynamic_stack 0
		.amdhsa_system_sgpr_private_segment_wavefront_offset 0
		.amdhsa_system_sgpr_workgroup_id_x 1
		.amdhsa_system_sgpr_workgroup_id_y 1
		.amdhsa_system_sgpr_workgroup_id_z 1
		.amdhsa_system_sgpr_workgroup_info 0
		.amdhsa_system_vgpr_workitem_id 2
		.amdhsa_next_free_vgpr 48
		.amdhsa_next_free_sgpr 66
		.amdhsa_accum_offset 48
		.amdhsa_reserve_vcc 1
		.amdhsa_reserve_flat_scratch 0
		.amdhsa_float_round_mode_32 0
		.amdhsa_float_round_mode_16_64 0
		.amdhsa_float_denorm_mode_32 3
		.amdhsa_float_denorm_mode_16_64 3
		.amdhsa_dx10_clamp 1
		.amdhsa_ieee_mode 1
		.amdhsa_fp16_overflow 0
		.amdhsa_tg_split 0
		.amdhsa_exception_fp_ieee_invalid_op 0
		.amdhsa_exception_fp_denorm_src 0
		.amdhsa_exception_fp_ieee_div_zero 0
		.amdhsa_exception_fp_ieee_overflow 0
		.amdhsa_exception_fp_ieee_underflow 0
		.amdhsa_exception_fp_ieee_inexact 0
		.amdhsa_exception_int_div_zero 0
	.end_amdhsa_kernel
	.section	.text._ZN2at6native12_GLOBAL__N_121max_pool_forward_nhwcIfiEEvPKT_iT0_S6_S6_S6_S6_iiiiiiiiS6_S6_S6_S6_iiPS3_Pl,"axG",@progbits,_ZN2at6native12_GLOBAL__N_121max_pool_forward_nhwcIfiEEvPKT_iT0_S6_S6_S6_S6_iiiiiiiiS6_S6_S6_S6_iiPS3_Pl,comdat
.Lfunc_end4:
	.size	_ZN2at6native12_GLOBAL__N_121max_pool_forward_nhwcIfiEEvPKT_iT0_S6_S6_S6_S6_iiiiiiiiS6_S6_S6_S6_iiPS3_Pl, .Lfunc_end4-_ZN2at6native12_GLOBAL__N_121max_pool_forward_nhwcIfiEEvPKT_iT0_S6_S6_S6_S6_iiiiiiiiS6_S6_S6_S6_iiPS3_Pl
                                        ; -- End function
	.section	.AMDGPU.csdata,"",@progbits
; Kernel info:
; codeLenInByte = 3144
; NumSgprs: 70
; NumVgprs: 48
; NumAgprs: 0
; TotalNumVgprs: 48
; ScratchSize: 0
; MemoryBound: 0
; FloatMode: 240
; IeeeMode: 1
; LDSByteSize: 0 bytes/workgroup (compile time only)
; SGPRBlocks: 8
; VGPRBlocks: 5
; NumSGPRsForWavesPerEU: 70
; NumVGPRsForWavesPerEU: 48
; AccumOffset: 48
; Occupancy: 8
; WaveLimiterHint : 1
; COMPUTE_PGM_RSRC2:SCRATCH_EN: 0
; COMPUTE_PGM_RSRC2:USER_SGPR: 6
; COMPUTE_PGM_RSRC2:TRAP_HANDLER: 0
; COMPUTE_PGM_RSRC2:TGID_X_EN: 1
; COMPUTE_PGM_RSRC2:TGID_Y_EN: 1
; COMPUTE_PGM_RSRC2:TGID_Z_EN: 1
; COMPUTE_PGM_RSRC2:TIDIG_COMP_CNT: 2
; COMPUTE_PGM_RSRC3_GFX90A:ACCUM_OFFSET: 11
; COMPUTE_PGM_RSRC3_GFX90A:TG_SPLIT: 0
	.section	.text._ZN2at6native12_GLOBAL__N_121max_pool_forward_nhwcIflEEvPKT_iT0_S6_S6_S6_S6_iiiiiiiiS6_S6_S6_S6_iiPS3_Pl,"axG",@progbits,_ZN2at6native12_GLOBAL__N_121max_pool_forward_nhwcIflEEvPKT_iT0_S6_S6_S6_S6_iiiiiiiiS6_S6_S6_S6_iiPS3_Pl,comdat
	.globl	_ZN2at6native12_GLOBAL__N_121max_pool_forward_nhwcIflEEvPKT_iT0_S6_S6_S6_S6_iiiiiiiiS6_S6_S6_S6_iiPS3_Pl ; -- Begin function _ZN2at6native12_GLOBAL__N_121max_pool_forward_nhwcIflEEvPKT_iT0_S6_S6_S6_S6_iiiiiiiiS6_S6_S6_S6_iiPS3_Pl
	.p2align	8
	.type	_ZN2at6native12_GLOBAL__N_121max_pool_forward_nhwcIflEEvPKT_iT0_S6_S6_S6_S6_iiiiiiiiS6_S6_S6_S6_iiPS3_Pl,@function
_ZN2at6native12_GLOBAL__N_121max_pool_forward_nhwcIflEEvPKT_iT0_S6_S6_S6_S6_iiiiiiiiS6_S6_S6_S6_iiPS3_Pl: ; @_ZN2at6native12_GLOBAL__N_121max_pool_forward_nhwcIflEEvPKT_iT0_S6_S6_S6_S6_iiiiiiiiS6_S6_S6_S6_iiPS3_Pl
; %bb.0:
	s_load_dwordx4 s[0:3], s[4:5], 0x94
	s_load_dwordx2 s[12:13], s[4:5], 0x78
	v_bfe_u32 v6, v0, 10, 10
	v_bfe_u32 v7, v0, 20, 10
	v_and_b32_e32 v4, 0x3ff, v0
	s_waitcnt lgkmcnt(0)
	s_and_b32 s14, s2, 0xffff
	s_lshr_b32 s62, s2, 16
	s_mul_i32 s9, s14, s13
	s_and_b32 s33, s3, 0xffff
	s_mul_i32 s15, s9, s62
	v_mad_u32_u24 v5, v7, s62, v6
	s_mul_i32 s15, s15, s33
	v_mad_u64_u32 v[0:1], s[2:3], v5, s14, v[4:5]
	v_cmp_gt_u32_e32 vcc, s15, v0
	s_and_saveexec_b64 s[2:3], vcc
	s_cbranch_execz .LBB5_3
; %bb.1:
	s_mul_i32 s16, s62, s14
	s_lshl_b32 s10, s15, 3
	s_mul_i32 s16, s16, s33
	s_add_i32 s10, s10, 0
	v_mov_b32_e32 v2, 0
	v_lshl_add_u32 v1, v0, 2, s10
	s_lshl_b32 s17, s16, 2
	v_lshl_add_u32 v8, v0, 3, 0
	s_lshl_b32 s18, s16, 3
	s_mov_b64 s[10:11], 0
	v_mov_b32_e32 v9, 0xff800000
	v_mov_b32_e32 v3, v2
.LBB5_2:                                ; =>This Inner Loop Header: Depth=1
	v_add_u32_e32 v0, s16, v0
	v_cmp_le_u32_e32 vcc, s15, v0
	ds_write_b32 v1, v9
	ds_write_b64 v8, v[2:3]
	v_add_u32_e32 v1, s17, v1
	s_or_b64 s[10:11], vcc, s[10:11]
	v_add_u32_e32 v8, s18, v8
	s_andn2_b64 exec, exec, s[10:11]
	s_cbranch_execnz .LBB5_2
.LBB5_3:
	s_or_b64 exec, exec, s[2:3]
	v_cvt_f32_u32_e32 v0, s1
	s_load_dword s2, s[4:5], 0x8
	s_load_dwordx8 s[20:27], s[4:5], 0x10
	s_sub_i32 s10, 0, s1
	s_mov_b32 s19, 0
	v_rcp_iflag_f32_e32 v0, v0
	s_waitcnt lgkmcnt(0)
	v_cvt_f32_u32_e32 v1, s2
	s_add_i32 s3, s26, s1
	s_add_i32 s11, s3, -1
	v_mul_f32_e32 v0, 0x4f7ffffe, v0
	v_cvt_u32_f32_e32 v0, v0
	v_rcp_iflag_f32_e32 v1, v1
	s_barrier
	v_readfirstlane_b32 s16, v0
	s_mul_i32 s10, s10, s16
	s_mul_hi_u32 s10, s16, s10
	v_cvt_f32_u32_e32 v0, s0
	s_add_i32 s16, s16, s10
	s_mul_hi_u32 s10, s11, s16
	s_mul_i32 s16, s10, s1
	s_sub_i32 s11, s11, s16
	v_rcp_iflag_f32_e32 v0, v0
	s_add_i32 s16, s10, 1
	s_sub_i32 s17, s11, s1
	s_cmp_ge_u32 s11, s1
	s_cselect_b32 s10, s16, s10
	s_cselect_b32 s11, s17, s11
	v_mul_f32_e32 v0, 0x4f7ffffe, v0
	s_add_i32 s16, s10, 1
	v_cvt_u32_f32_e32 v0, v0
	s_cmp_ge_u32 s11, s1
	v_mul_f32_e32 v1, 0x4f7ffffe, v1
	s_cselect_b32 s10, s16, s10
	v_cvt_u32_f32_e32 v1, v1
	s_mul_i32 s8, s10, s8
	v_add_u32_e32 v17, s8, v7
	v_readfirstlane_b32 s1, v0
	v_add_u32_e32 v0, s10, v17
	v_min_i32_e32 v34, s26, v0
	v_readfirstlane_b32 s3, v1
	v_cmp_lt_i32_e32 vcc, v17, v34
	s_and_saveexec_b64 s[10:11], vcc
	s_cbranch_execz .LBB5_78
; %bb.4:
	s_sub_i32 s8, 0, s2
	s_mul_i32 s8, s8, s3
	s_load_dwordx2 s[28:29], s[4:5], 0x30
	s_load_dwordx2 s[10:11], s[4:5], 0x0
	s_mul_hi_u32 s8, s3, s8
	s_sub_i32 s16, 0, s0
	s_add_i32 s3, s3, s8
	s_mul_i32 s16, s16, s1
	s_mul_hi_u32 s3, s6, s3
	s_mul_hi_u32 s16, s1, s16
	s_add_i32 s1, s1, s16
	s_mul_i32 s16, s3, s2
	s_waitcnt lgkmcnt(0)
	s_add_i32 s8, s28, s0
	s_lshl_b32 s15, s15, 3
	s_sub_i32 s16, s6, s16
	s_add_i32 s8, s8, -1
	s_add_i32 s15, s15, 0
	s_add_i32 s17, s3, 1
	s_sub_i32 s18, s16, s2
	s_cmp_ge_u32 s16, s2
	s_cselect_b32 s3, s17, s3
	s_load_dwordx8 s[36:43], s[4:5], 0x58
	s_cselect_b32 s16, s18, s16
	s_add_i32 s17, s3, 1
	s_cmp_ge_u32 s16, s2
	s_cselect_b32 s16, s17, s3
	s_mul_i32 s2, s16, s2
	s_sub_i32 s17, s6, s2
	s_ashr_i32 s52, s17, 31
	s_waitcnt lgkmcnt(0)
	s_mul_i32 s2, s17, s37
	s_mul_hi_u32 s3, s17, s36
	s_add_i32 s2, s3, s2
	s_mul_i32 s3, s52, s36
	s_add_i32 s3, s2, s3
	s_mul_i32 s2, s17, s36
	s_mul_hi_u32 s1, s8, s1
	s_lshl_b64 s[2:3], s[2:3], 2
	s_add_u32 s63, s10, s2
	s_mul_i32 s2, s1, s0
	s_addc_u32 s64, s11, s3
	s_sub_i32 s2, s8, s2
	s_add_i32 s3, s1, 1
	s_sub_i32 s6, s2, s0
	s_cmp_ge_u32 s2, s0
	s_cselect_b32 s1, s3, s1
	s_load_dwordx8 s[44:51], s[4:5], 0x38
	s_cselect_b32 s2, s6, s2
	s_add_i32 s3, s1, 1
	s_cmp_ge_u32 s2, s0
	s_cselect_b32 s0, s3, s1
	s_mul_i32 s1, s0, s7
	v_mul_lo_u32 v0, s9, v5
	v_add_u32_e32 v35, s1, v6
	v_lshlrev_b32_e32 v8, 2, v0
	v_lshlrev_b32_e32 v9, 3, v0
	v_add_u32_e32 v0, s0, v35
	s_waitcnt lgkmcnt(0)
	s_add_i32 s0, s44, -1
	s_add_i32 s2, s45, -1
	s_mul_i32 s0, s0, s50
	s_mul_i32 s2, s2, s51
	s_add_i32 s67, s0, 1
	s_add_i32 s71, s2, 1
	s_ashr_i32 s65, s48, 31
	s_ashr_i32 s68, s67, 31
	;; [unrolled: 1-line block ×6, first 2 shown]
	s_max_i32 s2, s44, s45
	s_cmp_lt_i32 s2, 4
	s_mul_i32 s18, s14, s12
	v_pk_mov_b32 v[2:3], s[20:21], s[20:21] op_sel:[0,1]
	s_mul_i32 s16, s16, s14
	s_mov_b32 s30, s50
	s_cselect_b64 s[2:3], -1, 0
	v_cmp_ge_i64_e32 vcc, s[18:19], v[2:3]
	v_min_i32_e32 v36, s28, v0
	v_add_u32_e32 v0, s16, v4
	s_and_b64 s[34:35], s[2:3], vcc
	s_ashr_i32 s16, s12, 31
	v_cmp_gt_u64_e64 s[6:7], s[30:31], 1
	s_and_b64 s[6:7], s[6:7], exec
	s_cselect_b32 s75, s31, 0
	s_cselect_b32 s76, s50, 1
	s_add_u32 s6, s49, s51
	v_ashrrev_i32_e32 v1, 31, v0
	s_addc_u32 s7, s69, s73
	s_load_dwordx4 s[8:11], s[4:5], 0x80
	v_mul_lo_u32 v6, v1, s38
	v_mul_lo_u32 v7, v0, s39
	v_mad_u64_u32 v[2:3], s[4:5], v0, s38, 0
	s_sub_u32 s44, 0, s6
	v_add3_u32 v3, v3, v7, v6
	s_subb_u32 s45, 0, s7
	s_mul_hi_u32 s6, s38, s12
	s_mul_i32 s7, s38, s16
	v_lshlrev_b64 v[6:7], 2, v[2:3]
	s_add_i32 s6, s6, s7
	s_mul_i32 s7, s39, s12
	v_mov_b32_e32 v10, s64
	v_add_co_u32_e32 v37, vcc, s63, v6
	s_add_i32 s6, s6, s7
	s_mul_i32 s7, s38, s12
	v_addc_co_u32_e32 v38, vcc, v10, v7, vcc
	s_mul_hi_i32 s19, s14, s12
	s_mul_i32 s6, s6, s14
	s_mul_hi_u32 s12, s7, s14
	v_lshlrev_b32_e32 v7, 2, v5
	v_mul_lo_u32 v5, s13, v5
	s_add_i32 s77, s12, s6
	s_mul_i32 s6, s62, s33
	v_mul_lo_u32 v5, v5, s14
	v_lshlrev_b32_e32 v6, 2, v4
	v_lshlrev_b32_e32 v4, 3, v4
	v_lshl_add_u32 v7, s6, 3, v7
	v_lshlrev_b32_e32 v5, 3, v5
	v_add3_u32 v40, 0, v9, v4
	s_mul_i32 s78, s7, s14
	v_mul_lo_u32 v7, s13, v7
	v_add3_u32 v42, v5, v4, 0
	v_lshlrev_b64 v[4:5], 3, v[0:1]
	s_mul_i32 s6, s28, s27
	s_mul_hi_u32 s7, s28, s26
	v_mul_lo_u32 v7, v7, s14
	s_waitcnt lgkmcnt(0)
	v_add_co_u32_e32 v4, vcc, s10, v4
	s_add_i32 s6, s7, s6
	s_mul_i32 s7, s29, s26
	s_mul_i32 s10, s28, s26
	v_add3_u32 v39, s15, v8, v6
	v_add3_u32 v41, v7, v6, 0
	v_mov_b32_e32 v6, s11
	s_add_i32 s6, s6, s7
	s_mul_i32 s7, s10, s52
	s_mul_hi_u32 s11, s10, s17
	v_addc_co_u32_e32 v5, vcc, v6, v5, vcc
	s_add_i32 s7, s11, s7
	s_mul_i32 s6, s6, s17
	v_lshlrev_b64 v[6:7], 2, v[0:1]
	s_add_i32 s7, s7, s6
	s_mul_i32 s6, s10, s17
	v_mov_b32_e32 v8, s9
	v_add_co_u32_e32 v6, vcc, s8, v6
	s_mov_b32 s66, s48
	v_cmp_lt_i32_e64 s[0:1], v35, v36
	s_mov_b32 s70, s49
	s_mov_b32 s74, s51
	v_cmp_le_i64_e64 s[2:3], s[20:21], v[0:1]
	v_cmp_gt_i64_e64 s[4:5], s[20:21], v[0:1]
	s_mov_b64 s[36:37], 0
	s_lshl_b32 s79, s14, 2
	s_lshl_b32 s80, s14, 3
	s_lshl_b64 s[26:27], s[6:7], 3
	s_lshl_b64 s[38:39], s[18:19], 3
	v_addc_co_u32_e32 v7, vcc, v8, v7, vcc
	s_lshl_b64 s[48:49], s[6:7], 2
	s_lshl_b64 s[52:53], s[18:19], 2
	v_mov_b32_e32 v8, 0
	v_mov_b32_e32 v43, 0xff800000
	s_branch .LBB5_6
.LBB5_5:                                ;   in Loop: Header=BB5_6 Depth=1
	s_or_b64 exec, exec, s[54:55]
	v_add_u32_e32 v17, s33, v17
	v_cmp_ge_i32_e32 vcc, v17, v34
	s_or_b64 s[36:37], vcc, s[36:37]
	s_andn2_b64 exec, exec, s[36:37]
	s_cbranch_execz .LBB5_78
.LBB5_6:                                ; =>This Loop Header: Depth=1
                                        ;     Child Loop BB5_9 Depth 2
                                        ;       Child Loop BB5_14 Depth 3
                                        ;       Child Loop BB5_67 Depth 3
                                        ;         Child Loop BB5_70 Depth 4
                                        ;           Child Loop BB5_73 Depth 5
                                        ;       Child Loop BB5_77 Depth 3
	s_and_saveexec_b64 s[54:55], s[0:1]
	s_cbranch_execz .LBB5_5
; %bb.7:                                ;   in Loop: Header=BB5_6 Depth=1
	v_ashrrev_i32_e32 v9, 31, v17
	v_mul_lo_u32 v12, s29, v17
	v_mul_lo_u32 v9, s28, v9
	v_mad_u64_u32 v[10:11], s[6:7], s28, v17, 0
	v_add3_u32 v11, v11, v9, v12
	v_mad_i64_i32 v[12:13], s[6:7], v17, s46, 0
	v_mov_b32_e32 v9, s65
	v_subrev_co_u32_e32 v12, vcc, s66, v12
	v_subb_co_u32_e32 v13, vcc, v13, v9, vcc
	v_mov_b32_e32 v9, s68
	v_add_co_u32_e32 v14, vcc, s67, v12
	v_addc_co_u32_e32 v15, vcc, v13, v9, vcc
	v_mov_b32_e32 v9, s23
	v_cmp_gt_i64_e32 vcc, s[22:23], v[14:15]
	v_cndmask_b32_e32 v15, v9, v15, vcc
	v_mov_b32_e32 v9, s22
	v_cndmask_b32_e32 v14, v9, v14, vcc
	s_mov_b64 s[56:57], 0
	v_mov_b32_e32 v16, v35
	s_branch .LBB5_9
.LBB5_8:                                ;   in Loop: Header=BB5_9 Depth=2
	s_or_b64 exec, exec, s[6:7]
	v_add_u32_e32 v16, s62, v16
	v_cmp_ge_i32_e32 vcc, v16, v36
	s_or_b64 s[56:57], vcc, s[56:57]
	s_andn2_b64 exec, exec, s[56:57]
	s_cbranch_execz .LBB5_5
.LBB5_9:                                ;   Parent Loop BB5_6 Depth=1
                                        ; =>  This Loop Header: Depth=2
                                        ;       Child Loop BB5_14 Depth 3
                                        ;       Child Loop BB5_67 Depth 3
                                        ;         Child Loop BB5_70 Depth 4
                                        ;           Child Loop BB5_73 Depth 5
                                        ;       Child Loop BB5_77 Depth 3
	v_cmp_lt_i64_e32 vcc, 0, v[12:13]
	v_lshrrev_b32_e32 v20, 31, v13
	v_cndmask_b32_e32 v9, 0, v13, vcc
	v_cndmask_b32_e32 v18, 0, v12, vcc
	v_add_co_u32_e32 v19, vcc, v12, v20
	v_addc_co_u32_e32 v21, vcc, 0, v13, vcc
	v_sub_co_u32_e32 v18, vcc, v18, v19
	v_subb_co_u32_e32 v19, vcc, v9, v21, vcc
	v_or_b32_e32 v9, s75, v19
	v_cmp_ne_u64_e32 vcc, 0, v[8:9]
                                        ; implicit-def: $vgpr22_vgpr23
	s_and_saveexec_b64 s[6:7], vcc
	s_xor_b64 s[8:9], exec, s[6:7]
	s_cbranch_execz .LBB5_11
; %bb.10:                               ;   in Loop: Header=BB5_9 Depth=2
	v_cvt_f32_u32_e32 v9, s76
	v_cvt_f32_u32_e32 v21, s75
	s_sub_u32 s6, 0, s76
	s_subb_u32 s7, 0, s75
	v_mac_f32_e32 v9, 0x4f800000, v21
	v_rcp_f32_e32 v9, v9
	v_mul_f32_e32 v9, 0x5f7ffffc, v9
	v_mul_f32_e32 v21, 0x2f800000, v9
	v_trunc_f32_e32 v21, v21
	v_mac_f32_e32 v9, 0xcf800000, v21
	v_cvt_u32_f32_e32 v21, v21
	v_cvt_u32_f32_e32 v9, v9
	v_mul_lo_u32 v22, s6, v21
	v_mul_hi_u32 v24, s6, v9
	v_mul_lo_u32 v23, s7, v9
	v_add_u32_e32 v22, v24, v22
	v_mul_lo_u32 v25, s6, v9
	v_add_u32_e32 v22, v22, v23
	v_mul_hi_u32 v24, v9, v25
	v_mul_lo_u32 v26, v9, v22
	v_mul_hi_u32 v23, v9, v22
	v_add_co_u32_e32 v24, vcc, v24, v26
	v_addc_co_u32_e32 v23, vcc, 0, v23, vcc
	v_mul_hi_u32 v27, v21, v25
	v_mul_lo_u32 v25, v21, v25
	v_add_co_u32_e32 v24, vcc, v24, v25
	v_mul_hi_u32 v26, v21, v22
	v_addc_co_u32_e32 v23, vcc, v23, v27, vcc
	v_addc_co_u32_e32 v24, vcc, 0, v26, vcc
	v_mul_lo_u32 v22, v21, v22
	v_add_co_u32_e32 v22, vcc, v23, v22
	v_addc_co_u32_e32 v23, vcc, 0, v24, vcc
	v_add_co_u32_e32 v9, vcc, v9, v22
	v_addc_co_u32_e32 v21, vcc, v21, v23, vcc
	v_mul_lo_u32 v22, s6, v21
	v_mul_hi_u32 v23, s6, v9
	v_add_u32_e32 v22, v23, v22
	v_mul_lo_u32 v23, s7, v9
	v_add_u32_e32 v22, v22, v23
	v_mul_lo_u32 v24, s6, v9
	v_mul_hi_u32 v25, v21, v24
	v_mul_lo_u32 v26, v21, v24
	v_mul_lo_u32 v28, v9, v22
	v_mul_hi_u32 v24, v9, v24
	v_mul_hi_u32 v27, v9, v22
	v_add_co_u32_e32 v24, vcc, v24, v28
	v_addc_co_u32_e32 v27, vcc, 0, v27, vcc
	v_add_co_u32_e32 v24, vcc, v24, v26
	v_mul_hi_u32 v23, v21, v22
	v_addc_co_u32_e32 v24, vcc, v27, v25, vcc
	v_addc_co_u32_e32 v23, vcc, 0, v23, vcc
	v_mul_lo_u32 v22, v21, v22
	v_add_co_u32_e32 v22, vcc, v24, v22
	v_addc_co_u32_e32 v23, vcc, 0, v23, vcc
	v_add_co_u32_e32 v9, vcc, v9, v22
	v_addc_co_u32_e32 v21, vcc, v21, v23, vcc
	v_mad_u64_u32 v[22:23], s[6:7], v18, v21, 0
	v_mul_hi_u32 v24, v18, v9
	v_add_co_u32_e32 v26, vcc, v24, v22
	v_addc_co_u32_e32 v27, vcc, 0, v23, vcc
	v_mad_u64_u32 v[24:25], s[6:7], v19, v9, 0
	v_add_co_u32_e32 v9, vcc, v26, v24
	v_mad_u64_u32 v[22:23], s[6:7], v19, v21, 0
	v_addc_co_u32_e32 v9, vcc, v27, v25, vcc
	v_addc_co_u32_e32 v21, vcc, 0, v23, vcc
	v_add_co_u32_e32 v9, vcc, v9, v22
	v_addc_co_u32_e32 v21, vcc, 0, v21, vcc
	v_mul_lo_u32 v24, s75, v9
	v_mul_lo_u32 v25, s76, v21
	v_mad_u64_u32 v[22:23], s[6:7], s76, v9, 0
	v_add3_u32 v23, v23, v25, v24
	v_sub_u32_e32 v24, v19, v23
	v_mov_b32_e32 v25, s75
	v_sub_co_u32_e32 v18, vcc, v18, v22
	v_subb_co_u32_e64 v22, s[6:7], v24, v25, vcc
	v_subrev_co_u32_e64 v24, s[6:7], s76, v18
	v_subbrev_co_u32_e64 v22, s[6:7], 0, v22, s[6:7]
	v_cmp_le_u32_e64 s[6:7], s75, v22
	v_cndmask_b32_e64 v25, 0, -1, s[6:7]
	v_cmp_le_u32_e64 s[6:7], s76, v24
	v_cndmask_b32_e64 v24, 0, -1, s[6:7]
	v_cmp_eq_u32_e64 s[6:7], s75, v22
	v_cndmask_b32_e64 v22, v25, v24, s[6:7]
	v_add_co_u32_e64 v24, s[6:7], 2, v9
	v_subb_co_u32_e32 v19, vcc, v19, v23, vcc
	v_addc_co_u32_e64 v25, s[6:7], 0, v21, s[6:7]
	v_cmp_le_u32_e32 vcc, s75, v19
	v_add_co_u32_e64 v26, s[6:7], 1, v9
	v_cndmask_b32_e64 v23, 0, -1, vcc
	v_cmp_le_u32_e32 vcc, s76, v18
	v_addc_co_u32_e64 v27, s[6:7], 0, v21, s[6:7]
	v_cndmask_b32_e64 v18, 0, -1, vcc
	v_cmp_eq_u32_e32 vcc, s75, v19
	v_cmp_ne_u32_e64 s[6:7], 0, v22
	v_cndmask_b32_e32 v18, v23, v18, vcc
	v_cndmask_b32_e64 v22, v27, v25, s[6:7]
	v_cmp_ne_u32_e32 vcc, 0, v18
	v_cndmask_b32_e64 v18, v26, v24, s[6:7]
	v_cndmask_b32_e32 v23, v21, v22, vcc
	v_cndmask_b32_e32 v22, v9, v18, vcc
                                        ; implicit-def: $vgpr18
.LBB5_11:                               ;   in Loop: Header=BB5_9 Depth=2
	s_andn2_saveexec_b64 s[6:7], s[8:9]
	s_cbranch_execz .LBB5_13
; %bb.12:                               ;   in Loop: Header=BB5_9 Depth=2
	v_cvt_f32_u32_e32 v9, s76
	s_sub_i32 s8, 0, s76
	v_mov_b32_e32 v23, v8
	v_rcp_iflag_f32_e32 v9, v9
	v_mul_f32_e32 v9, 0x4f7ffffe, v9
	v_cvt_u32_f32_e32 v9, v9
	v_mul_lo_u32 v19, s8, v9
	v_mul_hi_u32 v19, v9, v19
	v_add_u32_e32 v9, v9, v19
	v_mul_hi_u32 v9, v18, v9
	v_mul_lo_u32 v19, v9, s76
	v_sub_u32_e32 v18, v18, v19
	v_add_u32_e32 v21, 1, v9
	v_subrev_u32_e32 v19, s76, v18
	v_cmp_le_u32_e32 vcc, s76, v18
	v_cndmask_b32_e32 v18, v18, v19, vcc
	v_cndmask_b32_e32 v9, v9, v21, vcc
	v_add_u32_e32 v19, 1, v9
	v_cmp_le_u32_e32 vcc, s76, v18
	v_cndmask_b32_e32 v22, v9, v19, vcc
.LBB5_13:                               ;   in Loop: Header=BB5_9 Depth=2
	s_or_b64 exec, exec, s[6:7]
	v_pk_mov_b32 v[18:19], s[44:45], s[44:45] op_sel:[0,1]
	v_mad_i64_i32 v[24:25], s[6:7], s47, v16, 0
	v_mad_i64_i32 v[18:19], s[6:7], s47, v16, v[18:19]
	v_ashrrev_i32_e32 v9, 31, v16
	s_mov_b64 s[6:7], 0
.LBB5_14:                               ;   Parent Loop BB5_6 Depth=1
                                        ;     Parent Loop BB5_9 Depth=2
                                        ; =>    This Inner Loop Header: Depth=3
	v_mov_b32_e32 v21, s73
	v_add_co_u32_e32 v18, vcc, s74, v18
	v_addc_co_u32_e32 v19, vcc, v19, v21, vcc
	v_cmp_lt_i64_e32 vcc, -1, v[18:19]
	s_or_b64 s[6:7], vcc, s[6:7]
	s_andn2_b64 exec, exec, s[6:7]
	s_cbranch_execnz .LBB5_14
; %bb.15:                               ;   in Loop: Header=BB5_9 Depth=2
	s_or_b64 exec, exec, s[6:7]
	v_mov_b32_e32 v21, s69
	v_subrev_co_u32_e32 v24, vcc, s70, v24
	v_subb_co_u32_e32 v21, vcc, v25, v21, vcc
	v_mov_b32_e32 v25, s72
	v_add_co_u32_e32 v24, vcc, s71, v24
	v_addc_co_u32_e32 v25, vcc, v21, v25, vcc
	v_add_co_u32_e32 v22, vcc, v20, v22
	v_addc_co_u32_e32 v23, vcc, 0, v23, vcc
	v_mov_b32_e32 v20, s25
	v_cmp_gt_i64_e32 vcc, s[24:25], v[24:25]
	v_cndmask_b32_e32 v21, v20, v25, vcc
	v_mov_b32_e32 v20, s24
	v_cndmask_b32_e32 v20, v20, v24, vcc
	v_mul_lo_u32 v24, v22, s31
	v_mul_lo_u32 v23, v23, s30
	v_mad_u64_u32 v[12:13], s[6:7], v22, s30, v[12:13]
	v_add3_u32 v13, v23, v13, v24
	s_mov_b64 s[6:7], -1
	s_and_b64 vcc, exec, s[34:35]
	s_cbranch_vccnz .LBB5_18
; %bb.16:                               ;   in Loop: Header=BB5_9 Depth=2
	s_and_b64 vcc, exec, s[6:7]
	s_cbranch_vccnz .LBB5_64
.LBB5_17:                               ;   in Loop: Header=BB5_9 Depth=2
	s_and_saveexec_b64 s[6:7], s[4:5]
	s_cbranch_execz .LBB5_8
	s_branch .LBB5_76
.LBB5_18:                               ;   in Loop: Header=BB5_9 Depth=2
	v_ashrrev_i32_e32 v29, 31, v12
	v_mul_lo_u32 v24, v12, s41
	v_mul_lo_u32 v25, v29, s40
	v_mad_u64_u32 v[22:23], s[6:7], v12, s40, 0
	v_add3_u32 v23, v23, v24, v25
	v_lshlrev_b64 v[22:23], 2, v[22:23]
	v_add_co_u32_e64 v30, s[6:7], v37, v22
	v_mov_b32_e32 v28, v12
	v_addc_co_u32_e64 v31, s[6:7], v38, v23, s[6:7]
	v_ashrrev_i32_e32 v23, 31, v18
	v_mov_b32_e32 v22, v18
	v_cmp_le_i64_e32 vcc, v[14:15], v[28:29]
	v_cmp_le_i64_e64 s[10:11], v[20:21], v[22:23]
	s_or_b64 s[6:7], vcc, s[10:11]
	s_or_b64 s[6:7], s[6:7], s[2:3]
	s_xor_b64 s[6:7], s[6:7], -1
	v_mov_b32_e32 v44, 0
	v_mul_lo_u32 v51, v23, s42
	v_mul_lo_u32 v53, v22, s43
	v_mov_b32_e32 v48, 0
	s_and_saveexec_b64 s[8:9], s[6:7]
	s_cbranch_execz .LBB5_20
; %bb.19:                               ;   in Loop: Header=BB5_9 Depth=2
	v_mad_u64_u32 v[24:25], s[6:7], v22, s42, 0
	v_add3_u32 v25, v25, v53, v51
	v_lshlrev_b64 v[24:25], 2, v[24:25]
	v_add_co_u32_e64 v24, s[6:7], v30, v24
	v_addc_co_u32_e64 v25, s[6:7], v31, v25, s[6:7]
	global_load_dword v48, v[24:25], off
.LBB5_20:                               ;   in Loop: Header=BB5_9 Depth=2
	s_or_b64 exec, exec, s[8:9]
	v_add_u32_e32 v24, s51, v18
	v_ashrrev_i32_e32 v25, 31, v24
	v_cmp_le_i64_e64 s[12:13], v[20:21], v[24:25]
	s_or_b64 s[6:7], vcc, s[12:13]
	s_or_b64 s[6:7], s[6:7], s[2:3]
	s_xor_b64 s[6:7], s[6:7], -1
	v_mul_lo_u32 v54, v25, s42
	v_mul_lo_u32 v55, v24, s43
	s_and_saveexec_b64 s[8:9], s[6:7]
	s_cbranch_execz .LBB5_22
; %bb.21:                               ;   in Loop: Header=BB5_9 Depth=2
	v_mad_u64_u32 v[26:27], s[6:7], v24, s42, 0
	v_add3_u32 v27, v27, v55, v54
	v_lshlrev_b64 v[26:27], 2, v[26:27]
	v_add_co_u32_e64 v26, s[6:7], v30, v26
	v_addc_co_u32_e64 v27, s[6:7], v31, v27, s[6:7]
	global_load_dword v44, v[26:27], off
.LBB5_22:                               ;   in Loop: Header=BB5_9 Depth=2
	s_or_b64 exec, exec, s[8:9]
	v_add_u32_e32 v26, s51, v24
	v_ashrrev_i32_e32 v27, 31, v26
	v_cmp_le_i64_e64 s[14:15], v[20:21], v[26:27]
	s_or_b64 s[6:7], vcc, s[14:15]
	s_or_b64 s[6:7], s[6:7], s[2:3]
	s_xor_b64 s[6:7], s[6:7], -1
	v_mov_b32_e32 v45, 0
	v_mul_lo_u32 v56, v27, s42
	v_mul_lo_u32 v57, v26, s43
	v_mov_b32_e32 v49, 0
	s_and_saveexec_b64 s[8:9], s[6:7]
	s_cbranch_execz .LBB5_24
; %bb.23:                               ;   in Loop: Header=BB5_9 Depth=2
	v_mad_u64_u32 v[32:33], s[6:7], v26, s42, 0
	v_add3_u32 v33, v33, v57, v56
	v_lshlrev_b64 v[32:33], 2, v[32:33]
	v_add_co_u32_e64 v30, s[6:7], v30, v32
	v_addc_co_u32_e64 v31, s[6:7], v31, v33, s[6:7]
	global_load_dword v49, v[30:31], off
.LBB5_24:                               ;   in Loop: Header=BB5_9 Depth=2
	s_or_b64 exec, exec, s[8:9]
	v_add_u32_e32 v30, s50, v12
	v_ashrrev_i32_e32 v31, 31, v30
	v_mul_lo_u32 v46, v31, s40
	v_mul_lo_u32 v47, v30, s41
	v_mad_u64_u32 v[32:33], s[6:7], v30, s40, 0
	v_add3_u32 v33, v33, v47, v46
	v_lshlrev_b64 v[32:33], 2, v[32:33]
	v_add_co_u32_e64 v32, s[8:9], v37, v32
	v_cmp_le_i64_e64 s[6:7], v[14:15], v[30:31]
	v_addc_co_u32_e64 v33, s[8:9], v38, v33, s[8:9]
	s_or_b64 s[8:9], s[6:7], s[10:11]
	s_or_b64 s[8:9], s[8:9], s[2:3]
	s_xor_b64 s[8:9], s[8:9], -1
	s_and_saveexec_b64 s[16:17], s[8:9]
	s_cbranch_execz .LBB5_26
; %bb.25:                               ;   in Loop: Header=BB5_9 Depth=2
	v_mad_u64_u32 v[46:47], s[8:9], v22, s42, 0
	v_add3_u32 v47, v47, v53, v51
	v_lshlrev_b64 v[46:47], 2, v[46:47]
	v_add_co_u32_e64 v46, s[8:9], v32, v46
	v_addc_co_u32_e64 v47, s[8:9], v33, v47, s[8:9]
	global_load_dword v45, v[46:47], off
.LBB5_26:                               ;   in Loop: Header=BB5_9 Depth=2
	s_or_b64 exec, exec, s[16:17]
	s_or_b64 s[8:9], s[6:7], s[12:13]
	s_or_b64 s[8:9], s[8:9], s[2:3]
	s_xor_b64 s[8:9], s[8:9], -1
	v_mov_b32_e32 v46, 0
	v_mov_b32_e32 v50, 0
	s_and_saveexec_b64 s[16:17], s[8:9]
	s_cbranch_execz .LBB5_28
; %bb.27:                               ;   in Loop: Header=BB5_9 Depth=2
	v_mad_u64_u32 v[58:59], s[8:9], v24, s42, 0
	v_add3_u32 v59, v59, v55, v54
	v_lshlrev_b64 v[58:59], 2, v[58:59]
	v_add_co_u32_e64 v58, s[8:9], v32, v58
	v_addc_co_u32_e64 v59, s[8:9], v33, v59, s[8:9]
	global_load_dword v50, v[58:59], off
.LBB5_28:                               ;   in Loop: Header=BB5_9 Depth=2
	s_or_b64 exec, exec, s[16:17]
	s_or_b64 s[8:9], s[6:7], s[14:15]
	s_or_b64 s[8:9], s[8:9], s[2:3]
	s_xor_b64 s[8:9], s[8:9], -1
	s_and_saveexec_b64 s[16:17], s[8:9]
	s_cbranch_execz .LBB5_30
; %bb.29:                               ;   in Loop: Header=BB5_9 Depth=2
	v_mad_u64_u32 v[46:47], s[8:9], v26, s42, 0
	v_add3_u32 v47, v47, v57, v56
	v_lshlrev_b64 v[46:47], 2, v[46:47]
	v_add_co_u32_e64 v32, s[8:9], v32, v46
	v_addc_co_u32_e64 v33, s[8:9], v33, v47, s[8:9]
	global_load_dword v46, v[32:33], off
.LBB5_30:                               ;   in Loop: Header=BB5_9 Depth=2
	s_or_b64 exec, exec, s[16:17]
	v_add_u32_e32 v32, s50, v30
	v_ashrrev_i32_e32 v33, 31, v32
	v_mul_lo_u32 v47, v33, s40
	v_mul_lo_u32 v52, v32, s41
	v_mad_u64_u32 v[58:59], s[8:9], v32, s40, 0
	v_add3_u32 v59, v59, v52, v47
	v_lshlrev_b64 v[58:59], 2, v[58:59]
	v_add_co_u32_e64 v58, s[16:17], v37, v58
	v_cmp_le_i64_e64 s[8:9], v[14:15], v[32:33]
	v_addc_co_u32_e64 v59, s[16:17], v38, v59, s[16:17]
	s_or_b64 s[16:17], s[8:9], s[10:11]
	s_or_b64 s[16:17], s[16:17], s[2:3]
	s_xor_b64 s[16:17], s[16:17], -1
	v_mov_b32_e32 v47, 0
	v_mov_b32_e32 v52, 0
	s_and_saveexec_b64 s[58:59], s[16:17]
	s_cbranch_execz .LBB5_32
; %bb.31:                               ;   in Loop: Header=BB5_9 Depth=2
	v_mad_u64_u32 v[60:61], s[16:17], v22, s42, 0
	v_add3_u32 v61, v61, v53, v51
	v_lshlrev_b64 v[52:53], 2, v[60:61]
	v_add_co_u32_e64 v52, s[16:17], v58, v52
	v_addc_co_u32_e64 v53, s[16:17], v59, v53, s[16:17]
	global_load_dword v52, v[52:53], off
.LBB5_32:                               ;   in Loop: Header=BB5_9 Depth=2
	s_or_b64 exec, exec, s[58:59]
	s_or_b64 s[16:17], s[8:9], s[12:13]
	s_or_b64 s[16:17], s[16:17], s[2:3]
	s_xor_b64 s[16:17], s[16:17], -1
	s_and_saveexec_b64 s[58:59], s[16:17]
	s_cbranch_execz .LBB5_34
; %bb.33:                               ;   in Loop: Header=BB5_9 Depth=2
	v_mad_u64_u32 v[60:61], s[16:17], v24, s42, 0
	v_add3_u32 v61, v61, v55, v54
	v_lshlrev_b64 v[54:55], 2, v[60:61]
	v_add_co_u32_e64 v54, s[16:17], v58, v54
	v_addc_co_u32_e64 v55, s[16:17], v59, v55, s[16:17]
	global_load_dword v47, v[54:55], off
.LBB5_34:                               ;   in Loop: Header=BB5_9 Depth=2
	s_or_b64 exec, exec, s[58:59]
	s_or_b64 s[16:17], s[8:9], s[14:15]
	s_or_b64 s[16:17], s[16:17], s[2:3]
	s_xor_b64 s[16:17], s[16:17], -1
	v_mov_b32_e32 v51, 0
	s_and_saveexec_b64 s[58:59], s[16:17]
	s_cbranch_execz .LBB5_36
; %bb.35:                               ;   in Loop: Header=BB5_9 Depth=2
	v_mad_u64_u32 v[54:55], s[16:17], v26, s42, 0
	v_add3_u32 v55, v55, v57, v56
	v_lshlrev_b64 v[54:55], 2, v[54:55]
	v_add_co_u32_e64 v54, s[16:17], v58, v54
	v_addc_co_u32_e64 v55, s[16:17], v59, v55, s[16:17]
	global_load_dword v51, v[54:55], off
.LBB5_36:                               ;   in Loop: Header=BB5_9 Depth=2
	s_or_b64 exec, exec, s[58:59]
	s_or_b64 s[58:59], s[2:3], s[10:11]
	v_mul_lo_u32 v53, v29, s24
	v_mul_lo_u32 v54, v28, s25
	v_mad_u64_u32 v[28:29], s[16:17], v28, s24, 0
	s_or_b64 s[10:11], vcc, s[58:59]
	v_add3_u32 v29, v29, v54, v53
	s_xor_b64 s[10:11], s[10:11], -1
	s_and_saveexec_b64 s[60:61], s[10:11]
	s_cbranch_execz .LBB5_39
; %bb.37:                               ;   in Loop: Header=BB5_9 Depth=2
	ds_read_b32 v53, v39
	s_waitcnt vmcnt(0)
	v_cmp_u_f32_e64 s[16:17], v48, v48
	s_waitcnt lgkmcnt(0)
	v_cmp_gt_f32_e64 s[10:11], v48, v53
	s_or_b64 s[10:11], s[16:17], s[10:11]
	s_and_b64 exec, exec, s[10:11]
	s_cbranch_execz .LBB5_39
; %bb.38:                               ;   in Loop: Header=BB5_9 Depth=2
	v_add_co_u32_e64 v54, s[10:11], v28, v22
	v_addc_co_u32_e64 v55, s[10:11], v29, v23, s[10:11]
	ds_write_b32 v39, v48
	ds_write_b64 v40, v[54:55]
.LBB5_39:                               ;   in Loop: Header=BB5_9 Depth=2
	s_or_b64 exec, exec, s[60:61]
	s_or_b64 s[16:17], s[2:3], s[12:13]
	s_or_b64 s[10:11], vcc, s[16:17]
	s_xor_b64 s[10:11], s[10:11], -1
	s_and_saveexec_b64 s[60:61], s[10:11]
	s_cbranch_execz .LBB5_42
; %bb.40:                               ;   in Loop: Header=BB5_9 Depth=2
	s_waitcnt vmcnt(0)
	ds_read_b32 v48, v39
	v_cmp_u_f32_e64 s[12:13], v44, v44
	s_waitcnt lgkmcnt(0)
	v_cmp_gt_f32_e64 s[10:11], v44, v48
	s_or_b64 s[10:11], s[12:13], s[10:11]
	s_and_b64 exec, exec, s[10:11]
	s_cbranch_execz .LBB5_42
; %bb.41:                               ;   in Loop: Header=BB5_9 Depth=2
	v_add_co_u32_e64 v54, s[10:11], v28, v24
	v_addc_co_u32_e64 v55, s[10:11], v29, v25, s[10:11]
	ds_write_b32 v39, v44
	ds_write_b64 v40, v[54:55]
.LBB5_42:                               ;   in Loop: Header=BB5_9 Depth=2
	s_or_b64 exec, exec, s[60:61]
	s_or_b64 s[12:13], s[2:3], s[14:15]
	s_or_b64 s[10:11], vcc, s[12:13]
	s_xor_b64 s[10:11], s[10:11], -1
	s_and_saveexec_b64 s[14:15], s[10:11]
	s_cbranch_execz .LBB5_45
; %bb.43:                               ;   in Loop: Header=BB5_9 Depth=2
	s_waitcnt vmcnt(0)
	ds_read_b32 v44, v39
	v_cmp_u_f32_e64 s[10:11], v49, v49
	s_waitcnt lgkmcnt(0)
	v_cmp_gt_f32_e32 vcc, v49, v44
	s_or_b64 s[10:11], s[10:11], vcc
	s_and_b64 exec, exec, s[10:11]
	s_cbranch_execz .LBB5_45
; %bb.44:                               ;   in Loop: Header=BB5_9 Depth=2
	v_add_co_u32_e32 v28, vcc, v28, v26
	v_addc_co_u32_e32 v29, vcc, v29, v27, vcc
	ds_write_b32 v39, v49
	ds_write_b64 v40, v[28:29]
.LBB5_45:                               ;   in Loop: Header=BB5_9 Depth=2
	s_or_b64 exec, exec, s[14:15]
	v_mad_u64_u32 v[28:29], s[10:11], v30, s24, 0
	v_mul_lo_u32 v31, v31, s24
	s_waitcnt vmcnt(0)
	v_mul_lo_u32 v44, v30, s25
	s_or_b64 s[10:11], s[6:7], s[58:59]
	v_add3_u32 v29, v29, v44, v31
	s_xor_b64 s[10:11], s[10:11], -1
	s_and_saveexec_b64 s[14:15], s[10:11]
	s_cbranch_execz .LBB5_48
; %bb.46:                               ;   in Loop: Header=BB5_9 Depth=2
	ds_read_b32 v30, v39
	v_cmp_u_f32_e64 s[10:11], v45, v45
	s_waitcnt lgkmcnt(0)
	v_cmp_gt_f32_e32 vcc, v45, v30
	s_or_b64 s[10:11], s[10:11], vcc
	s_and_b64 exec, exec, s[10:11]
	s_cbranch_execz .LBB5_48
; %bb.47:                               ;   in Loop: Header=BB5_9 Depth=2
	v_add_co_u32_e32 v30, vcc, v28, v22
	v_addc_co_u32_e32 v31, vcc, v29, v23, vcc
	ds_write_b32 v39, v45
	ds_write_b64 v40, v[30:31]
.LBB5_48:                               ;   in Loop: Header=BB5_9 Depth=2
	s_or_b64 exec, exec, s[14:15]
	s_or_b64 s[10:11], s[6:7], s[16:17]
	s_xor_b64 s[10:11], s[10:11], -1
	s_and_saveexec_b64 s[14:15], s[10:11]
	s_cbranch_execz .LBB5_51
; %bb.49:                               ;   in Loop: Header=BB5_9 Depth=2
	ds_read_b32 v30, v39
	v_cmp_u_f32_e64 s[10:11], v50, v50
	s_waitcnt lgkmcnt(0)
	v_cmp_gt_f32_e32 vcc, v50, v30
	s_or_b64 s[10:11], s[10:11], vcc
	s_and_b64 exec, exec, s[10:11]
	s_cbranch_execz .LBB5_51
; %bb.50:                               ;   in Loop: Header=BB5_9 Depth=2
	v_add_co_u32_e32 v30, vcc, v28, v24
	v_addc_co_u32_e32 v31, vcc, v29, v25, vcc
	ds_write_b32 v39, v50
	ds_write_b64 v40, v[30:31]
.LBB5_51:                               ;   in Loop: Header=BB5_9 Depth=2
	s_or_b64 exec, exec, s[14:15]
	s_or_b64 s[6:7], s[6:7], s[12:13]
	s_xor_b64 s[6:7], s[6:7], -1
	s_and_saveexec_b64 s[10:11], s[6:7]
	s_cbranch_execz .LBB5_54
; %bb.52:                               ;   in Loop: Header=BB5_9 Depth=2
	ds_read_b32 v30, v39
	v_cmp_u_f32_e64 s[6:7], v46, v46
	s_waitcnt lgkmcnt(0)
	v_cmp_gt_f32_e32 vcc, v46, v30
	s_or_b64 s[6:7], s[6:7], vcc
	s_and_b64 exec, exec, s[6:7]
	s_cbranch_execz .LBB5_54
; %bb.53:                               ;   in Loop: Header=BB5_9 Depth=2
	v_add_co_u32_e32 v28, vcc, v28, v26
	v_addc_co_u32_e32 v29, vcc, v29, v27, vcc
	ds_write_b32 v39, v46
	ds_write_b64 v40, v[28:29]
.LBB5_54:                               ;   in Loop: Header=BB5_9 Depth=2
	s_or_b64 exec, exec, s[10:11]
	v_mad_u64_u32 v[28:29], s[6:7], v32, s24, 0
	v_mul_lo_u32 v30, v33, s24
	v_mul_lo_u32 v31, v32, s25
	s_or_b64 s[6:7], s[8:9], s[58:59]
	v_add3_u32 v29, v29, v31, v30
	s_xor_b64 s[6:7], s[6:7], -1
	s_and_saveexec_b64 s[10:11], s[6:7]
	s_cbranch_execz .LBB5_57
; %bb.55:                               ;   in Loop: Header=BB5_9 Depth=2
	ds_read_b32 v30, v39
	v_cmp_u_f32_e64 s[6:7], v52, v52
	s_waitcnt lgkmcnt(0)
	v_cmp_gt_f32_e32 vcc, v52, v30
	s_or_b64 s[6:7], s[6:7], vcc
	s_and_b64 exec, exec, s[6:7]
	s_cbranch_execz .LBB5_57
; %bb.56:                               ;   in Loop: Header=BB5_9 Depth=2
	v_add_co_u32_e32 v22, vcc, v28, v22
	v_addc_co_u32_e32 v23, vcc, v29, v23, vcc
	ds_write_b32 v39, v52
	ds_write_b64 v40, v[22:23]
.LBB5_57:                               ;   in Loop: Header=BB5_9 Depth=2
	s_or_b64 exec, exec, s[10:11]
	s_or_b64 s[6:7], s[8:9], s[16:17]
	s_xor_b64 s[6:7], s[6:7], -1
	s_and_saveexec_b64 s[10:11], s[6:7]
	s_cbranch_execz .LBB5_60
; %bb.58:                               ;   in Loop: Header=BB5_9 Depth=2
	ds_read_b32 v22, v39
	v_cmp_u_f32_e64 s[6:7], v47, v47
	s_waitcnt lgkmcnt(0)
	v_cmp_gt_f32_e32 vcc, v47, v22
	s_or_b64 s[6:7], s[6:7], vcc
	s_and_b64 exec, exec, s[6:7]
	s_cbranch_execz .LBB5_60
; %bb.59:                               ;   in Loop: Header=BB5_9 Depth=2
	v_add_co_u32_e32 v22, vcc, v28, v24
	v_addc_co_u32_e32 v23, vcc, v29, v25, vcc
	ds_write_b32 v39, v47
	ds_write_b64 v40, v[22:23]
.LBB5_60:                               ;   in Loop: Header=BB5_9 Depth=2
	s_or_b64 exec, exec, s[10:11]
	s_or_b64 s[6:7], s[8:9], s[12:13]
	s_xor_b64 s[6:7], s[6:7], -1
	s_and_saveexec_b64 s[8:9], s[6:7]
	s_cbranch_execz .LBB5_63
; %bb.61:                               ;   in Loop: Header=BB5_9 Depth=2
	ds_read_b32 v22, v39
	v_cmp_u_f32_e64 s[6:7], v51, v51
	s_waitcnt lgkmcnt(0)
	v_cmp_gt_f32_e32 vcc, v51, v22
	s_or_b64 s[6:7], s[6:7], vcc
	s_and_b64 exec, exec, s[6:7]
	s_cbranch_execz .LBB5_63
; %bb.62:                               ;   in Loop: Header=BB5_9 Depth=2
	v_add_co_u32_e32 v22, vcc, v28, v26
	v_addc_co_u32_e32 v23, vcc, v29, v27, vcc
	ds_write_b32 v39, v51
	ds_write_b64 v40, v[22:23]
.LBB5_63:                               ;   in Loop: Header=BB5_9 Depth=2
	s_or_b64 exec, exec, s[8:9]
	s_branch .LBB5_17
.LBB5_64:                               ;   in Loop: Header=BB5_9 Depth=2
	v_cmp_lt_i64_e32 vcc, v[12:13], v[14:15]
	s_and_saveexec_b64 s[10:11], vcc
	s_cbranch_execz .LBB5_75
; %bb.65:                               ;   in Loop: Header=BB5_9 Depth=2
	v_cmp_lt_i64_e32 vcc, v[18:19], v[20:21]
	s_mov_b64 s[12:13], 0
	v_pk_mov_b32 v[22:23], v[12:13], v[12:13] op_sel:[0,1]
	s_branch .LBB5_67
.LBB5_66:                               ;   in Loop: Header=BB5_67 Depth=3
	s_or_b64 exec, exec, s[14:15]
	v_mov_b32_e32 v24, s31
	v_add_co_u32_e64 v22, s[6:7], s30, v22
	v_addc_co_u32_e64 v23, s[6:7], v23, v24, s[6:7]
	v_cmp_ge_i64_e64 s[6:7], v[22:23], v[14:15]
	s_or_b64 s[12:13], s[6:7], s[12:13]
	s_andn2_b64 exec, exec, s[12:13]
	s_cbranch_execz .LBB5_75
.LBB5_67:                               ;   Parent Loop BB5_6 Depth=1
                                        ;     Parent Loop BB5_9 Depth=2
                                        ; =>    This Loop Header: Depth=3
                                        ;         Child Loop BB5_70 Depth 4
                                        ;           Child Loop BB5_73 Depth 5
	s_and_saveexec_b64 s[14:15], vcc
	s_cbranch_execz .LBB5_66
; %bb.68:                               ;   in Loop: Header=BB5_67 Depth=3
	v_mul_lo_u32 v26, v23, s40
	v_mul_lo_u32 v27, v22, s41
	v_mad_u64_u32 v[24:25], s[6:7], v22, s40, 0
	v_add3_u32 v25, v25, v27, v26
	v_lshlrev_b64 v[24:25], 2, v[24:25]
	v_mov_b32_e32 v26, s64
	v_add_co_u32_e64 v44, s[6:7], s63, v24
	v_addc_co_u32_e64 v45, s[6:7], v26, v25, s[6:7]
	v_mul_lo_u32 v26, v23, s24
	v_mul_lo_u32 v27, v22, s25
	v_mad_u64_u32 v[24:25], s[6:7], v22, s24, 0
	v_add3_u32 v25, v25, v27, v26
	s_mov_b64 s[16:17], 0
	v_pk_mov_b32 v[26:27], v[18:19], v[18:19] op_sel:[0,1]
	s_branch .LBB5_70
.LBB5_69:                               ;   in Loop: Header=BB5_70 Depth=4
	s_or_b64 exec, exec, s[58:59]
	v_mov_b32_e32 v28, s73
	v_add_co_u32_e64 v26, s[6:7], s74, v26
	v_addc_co_u32_e64 v27, s[6:7], v27, v28, s[6:7]
	v_cmp_ge_i64_e64 s[6:7], v[26:27], v[20:21]
	s_or_b64 s[16:17], s[6:7], s[16:17]
	s_andn2_b64 exec, exec, s[16:17]
	s_cbranch_execz .LBB5_66
.LBB5_70:                               ;   Parent Loop BB5_6 Depth=1
                                        ;     Parent Loop BB5_9 Depth=2
                                        ;       Parent Loop BB5_67 Depth=3
                                        ; =>      This Loop Header: Depth=4
                                        ;           Child Loop BB5_73 Depth 5
	s_and_saveexec_b64 s[58:59], s[4:5]
	s_cbranch_execz .LBB5_69
; %bb.71:                               ;   in Loop: Header=BB5_70 Depth=4
	v_mul_lo_u32 v30, v27, s42
	v_mul_lo_u32 v31, v26, s43
	v_mad_u64_u32 v[28:29], s[6:7], v26, s42, 0
	v_add3_u32 v29, v29, v31, v30
	v_lshlrev_b64 v[28:29], 2, v[28:29]
	v_add_co_u32_e64 v46, s[6:7], v44, v28
	v_addc_co_u32_e64 v47, s[6:7], v45, v29, s[6:7]
	v_add_co_u32_e64 v28, s[6:7], v26, v24
	v_addc_co_u32_e64 v29, s[6:7], v27, v25, s[6:7]
	s_mov_b64 s[60:61], 0
	v_mov_b32_e32 v48, v42
	v_mov_b32_e32 v49, v41
	v_pk_mov_b32 v[30:31], v[2:3], v[2:3] op_sel:[0,1]
	v_pk_mov_b32 v[32:33], v[0:1], v[0:1] op_sel:[0,1]
	s_branch .LBB5_73
.LBB5_72:                               ;   in Loop: Header=BB5_73 Depth=5
	s_or_b64 exec, exec, s[6:7]
	v_mov_b32_e32 v50, s19
	v_add_co_u32_e64 v32, s[6:7], s18, v32
	v_addc_co_u32_e64 v33, s[6:7], v33, v50, s[6:7]
	v_mov_b32_e32 v50, s77
	v_add_co_u32_e64 v30, s[6:7], s78, v30
	v_addc_co_u32_e64 v31, s[6:7], v31, v50, s[6:7]
	v_cmp_le_i64_e64 s[6:7], s[20:21], v[32:33]
	v_add_u32_e32 v49, s79, v49
	s_or_b64 s[60:61], s[6:7], s[60:61]
	v_add_u32_e32 v48, s80, v48
	s_andn2_b64 exec, exec, s[60:61]
	s_cbranch_execz .LBB5_69
.LBB5_73:                               ;   Parent Loop BB5_6 Depth=1
                                        ;     Parent Loop BB5_9 Depth=2
                                        ;       Parent Loop BB5_67 Depth=3
                                        ;         Parent Loop BB5_70 Depth=4
                                        ; =>        This Inner Loop Header: Depth=5
	v_lshlrev_b64 v[50:51], 2, v[30:31]
	v_add_co_u32_e64 v50, s[6:7], v46, v50
	v_addc_co_u32_e64 v51, s[6:7], v47, v51, s[6:7]
	global_load_dword v50, v[50:51], off
	ds_read_b32 v51, v49
	s_waitcnt vmcnt(0) lgkmcnt(0)
	v_cmp_gt_f32_e64 s[6:7], v50, v51
	v_cmp_u_f32_e64 s[8:9], v50, v50
	s_or_b64 s[8:9], s[8:9], s[6:7]
	s_and_saveexec_b64 s[6:7], s[8:9]
	s_cbranch_execz .LBB5_72
; %bb.74:                               ;   in Loop: Header=BB5_73 Depth=5
	ds_write_b32 v49, v50
	ds_write_b64 v48, v[28:29]
	s_branch .LBB5_72
.LBB5_75:                               ;   in Loop: Header=BB5_9 Depth=2
	s_or_b64 exec, exec, s[10:11]
	s_and_saveexec_b64 s[6:7], s[4:5]
	s_cbranch_execz .LBB5_8
.LBB5_76:                               ;   in Loop: Header=BB5_9 Depth=2
	v_add_co_u32_e32 v20, vcc, v10, v16
	v_addc_co_u32_e32 v21, vcc, v11, v9, vcc
	v_lshlrev_b64 v[18:19], 3, v[20:21]
	v_mov_b32_e32 v9, s27
	v_add_co_u32_e32 v18, vcc, s26, v18
	v_addc_co_u32_e32 v9, vcc, v9, v19, vcc
	v_mul_lo_u32 v9, s20, v9
	v_mul_lo_u32 v22, s21, v18
	v_mad_u64_u32 v[18:19], s[8:9], s20, v18, v[4:5]
	v_lshlrev_b64 v[20:21], 2, v[20:21]
	v_add3_u32 v19, v22, v19, v9
	v_mov_b32_e32 v9, s49
	v_add_co_u32_e32 v20, vcc, s48, v20
	v_addc_co_u32_e32 v9, vcc, v9, v21, vcc
	v_mul_lo_u32 v9, s20, v9
	v_mul_lo_u32 v22, s21, v20
	v_mad_u64_u32 v[20:21], s[8:9], s20, v20, v[6:7]
	v_add3_u32 v21, v22, v21, v9
	s_mov_b64 s[8:9], 0
	v_mov_b32_e32 v24, v42
	v_mov_b32_e32 v25, v41
	v_pk_mov_b32 v[22:23], v[0:1], v[0:1] op_sel:[0,1]
.LBB5_77:                               ;   Parent Loop BB5_6 Depth=1
                                        ;     Parent Loop BB5_9 Depth=2
                                        ; =>    This Inner Loop Header: Depth=3
	ds_read_b32 v28, v25
	ds_read_b64 v[26:27], v24
	v_mov_b32_e32 v29, s19
	v_add_co_u32_e32 v22, vcc, s18, v22
	v_addc_co_u32_e32 v23, vcc, v23, v29, vcc
	v_mov_b32_e32 v9, v8
	v_cmp_le_i64_e32 vcc, s[20:21], v[22:23]
	ds_write_b32 v25, v43
	v_mov_b32_e32 v30, s39
	ds_write_b64 v24, v[8:9]
	s_or_b64 s[8:9], vcc, s[8:9]
	s_waitcnt lgkmcnt(3)
	global_store_dword v[20:21], v28, off
	s_waitcnt lgkmcnt(2)
	global_store_dwordx2 v[18:19], v[26:27], off
	v_add_co_u32_e32 v18, vcc, s38, v18
	v_addc_co_u32_e32 v19, vcc, v19, v30, vcc
	v_mov_b32_e32 v31, s53
	v_add_co_u32_e32 v20, vcc, s52, v20
	v_add_u32_e32 v25, s79, v25
	v_add_u32_e32 v24, s80, v24
	v_addc_co_u32_e32 v21, vcc, v21, v31, vcc
	s_andn2_b64 exec, exec, s[8:9]
	s_cbranch_execnz .LBB5_77
	s_branch .LBB5_8
.LBB5_78:
	s_endpgm
	.section	.rodata,"a",@progbits
	.p2align	6, 0x0
	.amdhsa_kernel _ZN2at6native12_GLOBAL__N_121max_pool_forward_nhwcIflEEvPKT_iT0_S6_S6_S6_S6_iiiiiiiiS6_S6_S6_S6_iiPS3_Pl
		.amdhsa_group_segment_fixed_size 0
		.amdhsa_private_segment_fixed_size 0
		.amdhsa_kernarg_size 400
		.amdhsa_user_sgpr_count 6
		.amdhsa_user_sgpr_private_segment_buffer 1
		.amdhsa_user_sgpr_dispatch_ptr 0
		.amdhsa_user_sgpr_queue_ptr 0
		.amdhsa_user_sgpr_kernarg_segment_ptr 1
		.amdhsa_user_sgpr_dispatch_id 0
		.amdhsa_user_sgpr_flat_scratch_init 0
		.amdhsa_user_sgpr_kernarg_preload_length 0
		.amdhsa_user_sgpr_kernarg_preload_offset 0
		.amdhsa_user_sgpr_private_segment_size 0
		.amdhsa_uses_dynamic_stack 0
		.amdhsa_system_sgpr_private_segment_wavefront_offset 0
		.amdhsa_system_sgpr_workgroup_id_x 1
		.amdhsa_system_sgpr_workgroup_id_y 1
		.amdhsa_system_sgpr_workgroup_id_z 1
		.amdhsa_system_sgpr_workgroup_info 0
		.amdhsa_system_vgpr_workitem_id 2
		.amdhsa_next_free_vgpr 62
		.amdhsa_next_free_sgpr 81
		.amdhsa_accum_offset 64
		.amdhsa_reserve_vcc 1
		.amdhsa_reserve_flat_scratch 0
		.amdhsa_float_round_mode_32 0
		.amdhsa_float_round_mode_16_64 0
		.amdhsa_float_denorm_mode_32 3
		.amdhsa_float_denorm_mode_16_64 3
		.amdhsa_dx10_clamp 1
		.amdhsa_ieee_mode 1
		.amdhsa_fp16_overflow 0
		.amdhsa_tg_split 0
		.amdhsa_exception_fp_ieee_invalid_op 0
		.amdhsa_exception_fp_denorm_src 0
		.amdhsa_exception_fp_ieee_div_zero 0
		.amdhsa_exception_fp_ieee_overflow 0
		.amdhsa_exception_fp_ieee_underflow 0
		.amdhsa_exception_fp_ieee_inexact 0
		.amdhsa_exception_int_div_zero 0
	.end_amdhsa_kernel
	.section	.text._ZN2at6native12_GLOBAL__N_121max_pool_forward_nhwcIflEEvPKT_iT0_S6_S6_S6_S6_iiiiiiiiS6_S6_S6_S6_iiPS3_Pl,"axG",@progbits,_ZN2at6native12_GLOBAL__N_121max_pool_forward_nhwcIflEEvPKT_iT0_S6_S6_S6_S6_iiiiiiiiS6_S6_S6_S6_iiPS3_Pl,comdat
.Lfunc_end5:
	.size	_ZN2at6native12_GLOBAL__N_121max_pool_forward_nhwcIflEEvPKT_iT0_S6_S6_S6_S6_iiiiiiiiS6_S6_S6_S6_iiPS3_Pl, .Lfunc_end5-_ZN2at6native12_GLOBAL__N_121max_pool_forward_nhwcIflEEvPKT_iT0_S6_S6_S6_S6_iiiiiiiiS6_S6_S6_S6_iiPS3_Pl
                                        ; -- End function
	.section	.AMDGPU.csdata,"",@progbits
; Kernel info:
; codeLenInByte = 4928
; NumSgprs: 85
; NumVgprs: 62
; NumAgprs: 0
; TotalNumVgprs: 62
; ScratchSize: 0
; MemoryBound: 0
; FloatMode: 240
; IeeeMode: 1
; LDSByteSize: 0 bytes/workgroup (compile time only)
; SGPRBlocks: 10
; VGPRBlocks: 7
; NumSGPRsForWavesPerEU: 85
; NumVGPRsForWavesPerEU: 62
; AccumOffset: 64
; Occupancy: 8
; WaveLimiterHint : 1
; COMPUTE_PGM_RSRC2:SCRATCH_EN: 0
; COMPUTE_PGM_RSRC2:USER_SGPR: 6
; COMPUTE_PGM_RSRC2:TRAP_HANDLER: 0
; COMPUTE_PGM_RSRC2:TGID_X_EN: 1
; COMPUTE_PGM_RSRC2:TGID_Y_EN: 1
; COMPUTE_PGM_RSRC2:TGID_Z_EN: 1
; COMPUTE_PGM_RSRC2:TIDIG_COMP_CNT: 2
; COMPUTE_PGM_RSRC3_GFX90A:ACCUM_OFFSET: 15
; COMPUTE_PGM_RSRC3_GFX90A:TG_SPLIT: 0
	.section	.text._ZN2at6native12_GLOBAL__N_121max_pool_forward_nchwIfiEEvT0_PKT_llliiiiiiiiiiPS4_Pl,"axG",@progbits,_ZN2at6native12_GLOBAL__N_121max_pool_forward_nchwIfiEEvT0_PKT_llliiiiiiiiiiPS4_Pl,comdat
	.globl	_ZN2at6native12_GLOBAL__N_121max_pool_forward_nchwIfiEEvT0_PKT_llliiiiiiiiiiPS4_Pl ; -- Begin function _ZN2at6native12_GLOBAL__N_121max_pool_forward_nchwIfiEEvT0_PKT_llliiiiiiiiiiPS4_Pl
	.p2align	8
	.type	_ZN2at6native12_GLOBAL__N_121max_pool_forward_nchwIfiEEvT0_PKT_llliiiiiiiiiiPS4_Pl,@function
_ZN2at6native12_GLOBAL__N_121max_pool_forward_nchwIfiEEvT0_PKT_llliiiiiiiiiiPS4_Pl: ; @_ZN2at6native12_GLOBAL__N_121max_pool_forward_nchwIfiEEvT0_PKT_llliiiiiiiiiiPS4_Pl
; %bb.0:
	s_load_dword s28, s[4:5], 0x0
	s_load_dword s2, s[4:5], 0x6c
	v_mov_b32_e32 v2, 0
	v_mov_b32_e32 v1, v2
	;; [unrolled: 1-line block ×3, first 2 shown]
	s_waitcnt lgkmcnt(0)
	s_ashr_i32 s29, s28, 31
	s_add_u32 s0, s4, 0x60
	s_addc_u32 s1, s5, 0
	s_and_b32 s2, s2, 0xffff
	v_mad_u64_u32 v[0:1], s[6:7], s2, v3, v[0:1]
	v_cmp_gt_i64_e32 vcc, s[28:29], v[0:1]
	s_and_saveexec_b64 s[6:7], vcc
	s_cbranch_execz .LBB6_15
; %bb.1:
	s_load_dwordx8 s[8:15], s[4:5], 0x28
	s_load_dwordx2 s[6:7], s[4:5], 0x48
	s_load_dwordx8 s[16:23], s[4:5], 0x8
	s_load_dwordx4 s[24:27], s[4:5], 0x50
	s_load_dword s3, s[0:1], 0x0
	s_waitcnt lgkmcnt(0)
	s_abs_i32 s48, s9
	v_cvt_f32_u32_e32 v3, s48
	s_abs_i32 s54, s8
	v_cvt_f32_u32_e32 v4, s54
	s_add_i32 s0, s10, -1
	v_rcp_iflag_f32_e32 v3, v3
	s_mul_i32 s33, s0, s6
	s_add_i32 s0, s11, -1
	v_rcp_iflag_f32_e32 v4, v4
	v_mul_f32_e32 v3, 0x4f7ffffe, v3
	v_cvt_u32_f32_e32 v3, v3
	s_mul_i32 s49, s0, s7
	s_sub_i32 s0, 0, s48
	s_max_u32 s52, s6, 1
	v_mul_lo_u32 v5, s0, v3
	v_mul_hi_u32 v5, v3, v5
	v_add_u32_e32 v9, v3, v5
	v_mul_f32_e32 v3, 0x4f7ffffe, v4
	v_cvt_f32_u32_e32 v4, s52
	s_max_u32 s53, s7, 1
	v_cvt_f32_u32_e32 v6, s53
	v_cvt_u32_f32_e32 v3, v3
	v_rcp_iflag_f32_e32 v4, v4
	s_sub_i32 s0, 0, s54
	v_rcp_iflag_f32_e32 v6, v6
	v_mul_lo_u32 v5, s0, v3
	v_mul_f32_e32 v4, 0x4f7ffffe, v4
	v_mul_hi_u32 v5, v3, v5
	v_cvt_u32_f32_e32 v4, v4
	v_add_u32_e32 v12, v3, v5
	v_mul_f32_e32 v5, 0x4f7ffffe, v6
	v_cvt_u32_f32_e32 v5, v5
	s_sub_i32 s0, 0, s52
	v_mul_lo_u32 v3, s0, v4
	v_mul_hi_u32 v3, v4, v3
	s_sub_i32 s0, 0, s53
	v_add_u32_e32 v13, v4, v3
	v_mul_lo_u32 v3, s0, v5
	s_mul_i32 s0, s22, s21
	s_mul_hi_u32 s1, s22, s20
	s_add_i32 s0, s1, s0
	s_mul_i32 s1, s23, s20
	s_add_i32 s1, s0, s1
	s_mul_i32 s0, s22, s20
	s_lshl_b64 s[10:11], s[0:1], 2
	s_ashr_i32 s0, s6, 31
	s_mul_hi_u32 s1, s22, s6
	s_mul_i32 s0, s22, s0
	s_add_i32 s0, s1, s0
	s_mul_i32 s1, s23, s6
	v_mul_hi_u32 v3, v5, v3
	s_add_i32 s31, s0, s1
	s_mul_i32 s30, s6, s22
	s_ashr_i32 s1, s7, 31
	s_mov_b32 s0, s7
	s_add_i32 s33, s33, 1
	s_add_i32 s49, s49, 1
	s_mul_i32 s50, s3, s2
	s_mov_b32 s51, 0
	s_ashr_i32 s55, s9, 31
	s_ashr_i32 s56, s8, 31
	v_add_u32_e32 v14, v5, v3
	s_sub_i32 s21, 0, s14
	s_sub_i32 s57, 0, s15
	s_lshl_b64 s[34:35], s[30:31], 2
	s_lshl_b64 s[36:37], s[0:1], 2
	s_mov_b64 s[38:39], 0
	s_branch .LBB6_4
.LBB6_2:                                ;   in Loop: Header=BB6_4 Depth=1
	s_or_b64 exec, exec, s[42:43]
.LBB6_3:                                ;   in Loop: Header=BB6_4 Depth=1
	s_or_b64 exec, exec, s[40:41]
	v_ashrrev_i32_e32 v5, 31, v0
	v_mov_b32_e32 v4, v0
	v_lshlrev_b64 v[10:11], 2, v[4:5]
	v_mov_b32_e32 v3, s25
	v_add_co_u32_e32 v10, vcc, s24, v10
	v_addc_co_u32_e32 v11, vcc, v3, v11, vcc
	v_lshlrev_b64 v[4:5], 3, v[4:5]
	v_mov_b32_e32 v3, s27
	v_add_co_u32_e32 v4, vcc, s26, v4
	v_addc_co_u32_e32 v5, vcc, v3, v5, vcc
	v_mov_b32_e32 v3, s51
	v_add_co_u32_e32 v0, vcc, s50, v0
	v_addc_co_u32_e32 v1, vcc, v1, v3, vcc
	v_cmp_le_i64_e32 vcc, s[28:29], v[0:1]
	v_ashrrev_i32_e32 v7, 31, v6
	s_or_b64 s[38:39], vcc, s[38:39]
	global_store_dword v[10:11], v16, off
	global_store_dwordx2 v[4:5], v[6:7], off
	s_andn2_b64 exec, exec, s[38:39]
	s_cbranch_execz .LBB6_15
.LBB6_4:                                ; =>This Loop Header: Depth=1
                                        ;     Child Loop BB6_11 Depth 2
                                        ;       Child Loop BB6_13 Depth 3
	v_sub_u32_e32 v4, 0, v0
	v_max_i32_e32 v4, v0, v4
	v_mul_hi_u32 v5, v4, v9
	v_mul_lo_u32 v6, v5, s48
	v_sub_u32_e32 v4, v4, v6
	v_add_u32_e32 v6, 1, v5
	v_cmp_le_u32_e32 vcc, s48, v4
	v_cndmask_b32_e32 v5, v5, v6, vcc
	v_subrev_u32_e32 v6, s48, v4
	v_cndmask_b32_e32 v4, v4, v6, vcc
	v_ashrrev_i32_e32 v3, 31, v0
	v_add_u32_e32 v6, 1, v5
	v_cmp_le_u32_e32 vcc, s48, v4
	v_xor_b32_e32 v3, s55, v3
	v_cndmask_b32_e32 v4, v5, v6, vcc
	v_xor_b32_e32 v4, v4, v3
	v_sub_u32_e32 v6, v4, v3
	v_sub_u32_e32 v4, 0, v6
	v_max_i32_e32 v4, v6, v4
	v_mul_hi_u32 v5, v4, v12
	v_mul_lo_u32 v7, v5, s54
	v_sub_u32_e32 v4, v4, v7
	v_add_u32_e32 v7, 1, v5
	v_cmp_le_u32_e32 vcc, s54, v4
	v_cndmask_b32_e32 v5, v5, v7, vcc
	v_subrev_u32_e32 v7, s54, v4
	v_cndmask_b32_e32 v4, v4, v7, vcc
	v_ashrrev_i32_e32 v3, 31, v6
	v_add_u32_e32 v7, 1, v5
	v_cmp_le_u32_e32 vcc, s54, v4
	v_xor_b32_e32 v3, s56, v3
	v_cndmask_b32_e32 v4, v5, v7, vcc
	v_xor_b32_e32 v4, v4, v3
	v_sub_u32_e32 v4, v4, v3
	v_ashrrev_i32_e32 v5, 31, v4
	v_or_b32_e32 v3, s19, v5
	v_cmp_ne_u64_e32 vcc, 0, v[2:3]
                                        ; implicit-def: $vgpr10_vgpr11
	s_and_saveexec_b64 s[0:1], vcc
	s_xor_b64 s[2:3], exec, s[0:1]
	s_cbranch_execz .LBB6_6
; %bb.5:                                ;   in Loop: Header=BB6_4 Depth=1
	s_ashr_i32 s4, s19, 31
	s_add_u32 s0, s18, s4
	s_mov_b32 s5, s4
	s_addc_u32 s1, s19, s4
	s_xor_b64 s[40:41], s[0:1], s[4:5]
	v_cvt_f32_u32_e32 v3, s40
	v_cvt_f32_u32_e32 v7, s41
	s_sub_u32 s0, 0, s40
	s_subb_u32 s1, 0, s41
	v_mac_f32_e32 v3, 0x4f800000, v7
	v_rcp_f32_e32 v3, v3
	v_mul_f32_e32 v3, 0x5f7ffffc, v3
	v_mul_f32_e32 v7, 0x2f800000, v3
	v_trunc_f32_e32 v7, v7
	v_mac_f32_e32 v3, 0xcf800000, v7
	v_cvt_u32_f32_e32 v7, v7
	v_cvt_u32_f32_e32 v3, v3
	v_mul_lo_u32 v8, s0, v7
	v_mul_hi_u32 v11, s0, v3
	v_mul_lo_u32 v10, s1, v3
	v_add_u32_e32 v8, v11, v8
	v_mul_lo_u32 v15, s0, v3
	v_add_u32_e32 v8, v8, v10
	v_mul_lo_u32 v11, v3, v8
	v_mul_hi_u32 v16, v3, v15
	v_mul_hi_u32 v10, v3, v8
	v_add_co_u32_e32 v11, vcc, v16, v11
	v_addc_co_u32_e32 v10, vcc, 0, v10, vcc
	v_mul_hi_u32 v17, v7, v15
	v_mul_lo_u32 v15, v7, v15
	v_add_co_u32_e32 v11, vcc, v11, v15
	v_mul_hi_u32 v16, v7, v8
	v_addc_co_u32_e32 v10, vcc, v10, v17, vcc
	v_addc_co_u32_e32 v11, vcc, 0, v16, vcc
	v_mul_lo_u32 v8, v7, v8
	v_add_co_u32_e32 v8, vcc, v10, v8
	v_addc_co_u32_e32 v10, vcc, 0, v11, vcc
	v_add_co_u32_e32 v3, vcc, v3, v8
	v_addc_co_u32_e32 v7, vcc, v7, v10, vcc
	v_mul_lo_u32 v8, s0, v7
	v_mul_hi_u32 v10, s0, v3
	v_add_u32_e32 v8, v10, v8
	v_mul_lo_u32 v10, s1, v3
	v_add_u32_e32 v8, v8, v10
	v_mul_lo_u32 v11, s0, v3
	v_mul_hi_u32 v15, v7, v11
	v_mul_lo_u32 v16, v7, v11
	v_mul_lo_u32 v18, v3, v8
	v_mul_hi_u32 v11, v3, v11
	v_mul_hi_u32 v17, v3, v8
	v_add_co_u32_e32 v11, vcc, v11, v18
	v_addc_co_u32_e32 v17, vcc, 0, v17, vcc
	v_add_co_u32_e32 v11, vcc, v11, v16
	v_mul_hi_u32 v10, v7, v8
	v_addc_co_u32_e32 v11, vcc, v17, v15, vcc
	v_addc_co_u32_e32 v10, vcc, 0, v10, vcc
	v_mul_lo_u32 v8, v7, v8
	v_add_co_u32_e32 v8, vcc, v11, v8
	v_addc_co_u32_e32 v10, vcc, 0, v10, vcc
	v_add_co_u32_e32 v15, vcc, v3, v8
	v_addc_co_u32_e32 v7, vcc, v7, v10, vcc
	v_mov_b32_e32 v8, v5
	v_mov_b32_e32 v3, v5
	v_add_co_u32_e32 v10, vcc, v4, v8
	v_addc_co_u32_e32 v11, vcc, v5, v3, vcc
	v_xor_b32_e32 v19, v10, v8
	v_xor_b32_e32 v18, v11, v3
	v_mad_u64_u32 v[10:11], s[0:1], v19, v7, 0
	v_mul_hi_u32 v16, v19, v15
	v_add_co_u32_e32 v20, vcc, v16, v10
	v_addc_co_u32_e32 v21, vcc, 0, v11, vcc
	v_mad_u64_u32 v[16:17], s[0:1], v18, v15, 0
	v_mad_u64_u32 v[10:11], s[0:1], v18, v7, 0
	v_add_co_u32_e32 v7, vcc, v20, v16
	v_addc_co_u32_e32 v7, vcc, v21, v17, vcc
	v_addc_co_u32_e32 v11, vcc, 0, v11, vcc
	v_add_co_u32_e32 v7, vcc, v7, v10
	v_addc_co_u32_e32 v15, vcc, 0, v11, vcc
	v_mul_lo_u32 v16, s41, v7
	v_mul_lo_u32 v17, s40, v15
	v_mad_u64_u32 v[10:11], s[0:1], s40, v7, 0
	v_add3_u32 v11, v11, v17, v16
	v_sub_u32_e32 v16, v18, v11
	v_mov_b32_e32 v17, s41
	v_sub_co_u32_e32 v10, vcc, v19, v10
	v_subb_co_u32_e64 v16, s[0:1], v16, v17, vcc
	v_subrev_co_u32_e64 v17, s[0:1], s40, v10
	v_subbrev_co_u32_e64 v16, s[0:1], 0, v16, s[0:1]
	v_cmp_le_u32_e64 s[0:1], s41, v16
	v_cndmask_b32_e64 v19, 0, -1, s[0:1]
	v_cmp_le_u32_e64 s[0:1], s40, v17
	v_cndmask_b32_e64 v17, 0, -1, s[0:1]
	v_cmp_eq_u32_e64 s[0:1], s41, v16
	v_cndmask_b32_e64 v16, v19, v17, s[0:1]
	v_add_co_u32_e64 v17, s[0:1], 2, v7
	v_subb_co_u32_e32 v11, vcc, v18, v11, vcc
	v_addc_co_u32_e64 v19, s[0:1], 0, v15, s[0:1]
	v_cmp_le_u32_e32 vcc, s41, v11
	v_add_co_u32_e64 v20, s[0:1], 1, v7
	v_cndmask_b32_e64 v18, 0, -1, vcc
	v_cmp_le_u32_e32 vcc, s40, v10
	v_addc_co_u32_e64 v21, s[0:1], 0, v15, s[0:1]
	v_cndmask_b32_e64 v10, 0, -1, vcc
	v_cmp_eq_u32_e32 vcc, s41, v11
	v_cmp_ne_u32_e64 s[0:1], 0, v16
	v_cndmask_b32_e32 v10, v18, v10, vcc
	v_cmp_ne_u32_e32 vcc, 0, v10
	v_cndmask_b32_e64 v11, v20, v17, s[0:1]
	v_cndmask_b32_e64 v16, v21, v19, s[0:1]
	v_cndmask_b32_e32 v7, v7, v11, vcc
	v_xor_b32_e32 v8, s4, v8
	v_cndmask_b32_e32 v10, v15, v16, vcc
	v_xor_b32_e32 v3, s4, v3
	v_xor_b32_e32 v7, v7, v8
	;; [unrolled: 1-line block ×3, first 2 shown]
	v_sub_co_u32_e32 v10, vcc, v7, v8
	v_subb_co_u32_e32 v11, vcc, v11, v3, vcc
.LBB6_6:                                ;   in Loop: Header=BB6_4 Depth=1
	s_andn2_saveexec_b64 s[0:1], s[2:3]
	s_cbranch_execz .LBB6_8
; %bb.7:                                ;   in Loop: Header=BB6_4 Depth=1
	v_cvt_f32_u32_e32 v3, s18
	s_sub_i32 s2, 0, s18
	v_mov_b32_e32 v11, v2
	v_rcp_iflag_f32_e32 v3, v3
	v_mul_f32_e32 v3, 0x4f7ffffe, v3
	v_cvt_u32_f32_e32 v3, v3
	v_mul_lo_u32 v7, s2, v3
	v_mul_hi_u32 v7, v3, v7
	v_add_u32_e32 v3, v3, v7
	v_mul_hi_u32 v3, v4, v3
	v_mul_lo_u32 v7, v3, s18
	v_sub_u32_e32 v7, v4, v7
	v_add_u32_e32 v8, 1, v3
	v_subrev_u32_e32 v10, s18, v7
	v_cmp_le_u32_e32 vcc, s18, v7
	v_cndmask_b32_e32 v7, v7, v10, vcc
	v_cndmask_b32_e32 v3, v3, v8, vcc
	v_add_u32_e32 v8, 1, v3
	v_cmp_le_u32_e32 vcc, s18, v7
	v_cndmask_b32_e32 v10, v3, v8, vcc
.LBB6_8:                                ;   in Loop: Header=BB6_4 Depth=1
	s_or_b64 exec, exec, s[0:1]
	v_mul_lo_u32 v7, v4, s8
	v_mul_lo_u32 v3, v6, s9
	v_sub_u32_e32 v6, v6, v7
	v_mul_lo_u32 v17, v6, s12
	v_sub_u32_e32 v3, v0, v3
	v_subrev_u32_e32 v6, s14, v17
	v_mul_lo_u32 v18, v3, s13
	v_max_i32_e32 v3, 0, v6
	v_add_u32_e32 v3, s14, v3
	v_cmp_ne_u32_e32 vcc, v3, v17
	v_cndmask_b32_e64 v8, 0, 1, vcc
	v_add_u32_e32 v8, v17, v8
	v_sub_u32_e32 v3, v3, v8
	v_mul_hi_u32 v8, v3, v13
	v_mul_lo_u32 v15, v8, s52
	v_sub_u32_e32 v3, v3, v15
	v_add_u32_e32 v15, 1, v8
	v_cmp_le_u32_e64 s[0:1], s52, v3
	v_cndmask_b32_e64 v8, v8, v15, s[0:1]
	v_subrev_u32_e32 v15, s52, v3
	v_cndmask_b32_e64 v3, v3, v15, s[0:1]
	v_add_u32_e32 v15, 1, v8
	v_cmp_le_u32_e64 s[0:1], s52, v3
	v_cndmask_b32_e64 v3, v8, v15, s[0:1]
	v_addc_co_u32_e32 v3, vcc, 0, v3, vcc
	v_subrev_u32_e32 v19, s15, v18
	v_mul_lo_u32 v20, v3, s6
	v_add_u32_e32 v7, s33, v6
	v_add_u32_e32 v3, v6, v20
	v_max_i32_e32 v6, 0, v19
	v_add_u32_e32 v6, s15, v6
	v_cmp_ne_u32_e32 vcc, v6, v18
	v_cndmask_b32_e64 v8, 0, 1, vcc
	v_add_u32_e32 v8, v18, v8
	v_sub_u32_e32 v6, v6, v8
	v_mul_hi_u32 v8, v6, v14
	v_mul_lo_u32 v15, v8, s53
	v_sub_u32_e32 v6, v6, v15
	v_add_u32_e32 v15, 1, v8
	v_cmp_le_u32_e64 s[0:1], s53, v6
	v_cndmask_b32_e64 v8, v8, v15, s[0:1]
	v_subrev_u32_e32 v15, s53, v6
	v_cndmask_b32_e64 v6, v6, v15, s[0:1]
	v_add_u32_e32 v15, 1, v8
	v_cmp_le_u32_e64 s[0:1], s53, v6
	v_cndmask_b32_e64 v6, v8, v15, s[0:1]
	v_addc_co_u32_e32 v6, vcc, 0, v6, vcc
	v_mul_lo_u32 v21, v6, s7
	v_min_i32_e32 v15, s20, v7
	v_add_u32_e32 v8, v19, v21
	v_mad_u64_u32 v[6:7], s[0:1], v3, s22, v[8:9]
	v_cmp_lt_i32_e32 vcc, v3, v15
	v_mov_b32_e32 v16, 0xff800000
	s_and_saveexec_b64 s[40:41], vcc
	s_cbranch_execz .LBB6_3
; %bb.9:                                ;   in Loop: Header=BB6_4 Depth=1
	v_mul_lo_u32 v7, v11, s18
	v_mul_lo_u32 v11, v10, s19
	v_mad_u64_u32 v[22:23], s[0:1], v10, s18, 0
	v_add3_u32 v7, v23, v11, v7
	v_sub_co_u32_e32 v4, vcc, v4, v22
	v_subb_co_u32_e32 v5, vcc, v5, v7, vcc
	v_ashrrev_i32_e32 v16, 31, v10
	v_mad_u64_u32 v[4:5], s[0:1], v10, s18, v[4:5]
	v_mul_lo_u32 v10, v16, s18
	v_add3_u32 v5, v10, v5, v11
	v_add3_u32 v16, s21, v17, v20
	;; [unrolled: 1-line block ×3, first 2 shown]
	v_ashrrev_i32_e32 v17, 31, v16
	v_ashrrev_i32_e32 v11, 31, v10
	v_mul_lo_u32 v17, s22, v17
	v_mad_u64_u32 v[10:11], s[0:1], s22, v16, v[10:11]
	v_mul_lo_u32 v18, s23, v16
	v_add3_u32 v11, v18, v11, v17
	v_lshlrev_b64 v[10:11], 2, v[10:11]
	v_add_u32_e32 v7, s49, v19
	v_mad_u64_u32 v[10:11], s[0:1], s10, v4, v[10:11]
	v_mul_lo_u32 v4, s11, v4
	v_mul_lo_u32 v5, s10, v5
	v_min_i32_e32 v7, s22, v7
	v_add3_u32 v5, v4, v11, v5
	v_mov_b32_e32 v11, s17
	v_add_co_u32_e64 v4, s[0:1], s16, v10
	v_cmp_lt_i32_e32 vcc, v8, v7
	v_addc_co_u32_e64 v5, s[0:1], v11, v5, s[0:1]
	v_mul_lo_u32 v17, s22, v16
	s_mov_b64 s[42:43], 0
	v_mov_b32_e32 v16, 0xff800000
	s_branch .LBB6_11
.LBB6_10:                               ;   in Loop: Header=BB6_11 Depth=2
	s_or_b64 exec, exec, s[44:45]
	v_mov_b32_e32 v10, s35
	v_add_co_u32_e64 v4, s[0:1], s34, v4
	v_add_u32_e32 v3, s6, v3
	v_addc_co_u32_e64 v5, s[0:1], v5, v10, s[0:1]
	v_cmp_ge_i32_e64 s[0:1], v3, v15
	s_or_b64 s[42:43], s[0:1], s[42:43]
	v_add_u32_e32 v17, s30, v17
	s_andn2_b64 exec, exec, s[42:43]
	s_cbranch_execz .LBB6_2
.LBB6_11:                               ;   Parent Loop BB6_4 Depth=1
                                        ; =>  This Loop Header: Depth=2
                                        ;       Child Loop BB6_13 Depth 3
	s_and_saveexec_b64 s[44:45], vcc
	s_cbranch_execz .LBB6_10
; %bb.12:                               ;   in Loop: Header=BB6_11 Depth=2
	s_mov_b64 s[46:47], 0
	v_pk_mov_b32 v[10:11], v[4:5], v[4:5] op_sel:[0,1]
	v_mov_b32_e32 v18, v8
.LBB6_13:                               ;   Parent Loop BB6_4 Depth=1
                                        ;     Parent Loop BB6_11 Depth=2
                                        ; =>    This Inner Loop Header: Depth=3
	global_load_dword v19, v[10:11], off
	v_mov_b32_e32 v21, s37
	v_add_co_u32_e64 v10, s[0:1], s36, v10
	v_add_u32_e32 v20, v17, v18
	v_add_u32_e32 v18, s7, v18
	v_addc_co_u32_e64 v11, s[0:1], v11, v21, s[0:1]
	v_cmp_ge_i32_e64 s[0:1], v18, v7
	s_waitcnt vmcnt(0)
	v_cmp_gt_f32_e64 s[2:3], v19, v16
	v_cmp_u_f32_e64 s[4:5], v19, v19
	s_or_b64 s[2:3], s[2:3], s[4:5]
	v_cndmask_b32_e64 v16, v16, v19, s[2:3]
	s_or_b64 s[46:47], s[0:1], s[46:47]
	v_cndmask_b32_e64 v6, v6, v20, s[2:3]
	s_andn2_b64 exec, exec, s[46:47]
	s_cbranch_execnz .LBB6_13
; %bb.14:                               ;   in Loop: Header=BB6_11 Depth=2
	s_or_b64 exec, exec, s[46:47]
	s_branch .LBB6_10
.LBB6_15:
	s_endpgm
	.section	.rodata,"a",@progbits
	.p2align	6, 0x0
	.amdhsa_kernel _ZN2at6native12_GLOBAL__N_121max_pool_forward_nchwIfiEEvT0_PKT_llliiiiiiiiiiPS4_Pl
		.amdhsa_group_segment_fixed_size 0
		.amdhsa_private_segment_fixed_size 0
		.amdhsa_kernarg_size 352
		.amdhsa_user_sgpr_count 6
		.amdhsa_user_sgpr_private_segment_buffer 1
		.amdhsa_user_sgpr_dispatch_ptr 0
		.amdhsa_user_sgpr_queue_ptr 0
		.amdhsa_user_sgpr_kernarg_segment_ptr 1
		.amdhsa_user_sgpr_dispatch_id 0
		.amdhsa_user_sgpr_flat_scratch_init 0
		.amdhsa_user_sgpr_kernarg_preload_length 0
		.amdhsa_user_sgpr_kernarg_preload_offset 0
		.amdhsa_user_sgpr_private_segment_size 0
		.amdhsa_uses_dynamic_stack 0
		.amdhsa_system_sgpr_private_segment_wavefront_offset 0
		.amdhsa_system_sgpr_workgroup_id_x 1
		.amdhsa_system_sgpr_workgroup_id_y 0
		.amdhsa_system_sgpr_workgroup_id_z 0
		.amdhsa_system_sgpr_workgroup_info 0
		.amdhsa_system_vgpr_workitem_id 0
		.amdhsa_next_free_vgpr 24
		.amdhsa_next_free_sgpr 58
		.amdhsa_accum_offset 24
		.amdhsa_reserve_vcc 1
		.amdhsa_reserve_flat_scratch 0
		.amdhsa_float_round_mode_32 0
		.amdhsa_float_round_mode_16_64 0
		.amdhsa_float_denorm_mode_32 3
		.amdhsa_float_denorm_mode_16_64 3
		.amdhsa_dx10_clamp 1
		.amdhsa_ieee_mode 1
		.amdhsa_fp16_overflow 0
		.amdhsa_tg_split 0
		.amdhsa_exception_fp_ieee_invalid_op 0
		.amdhsa_exception_fp_denorm_src 0
		.amdhsa_exception_fp_ieee_div_zero 0
		.amdhsa_exception_fp_ieee_overflow 0
		.amdhsa_exception_fp_ieee_underflow 0
		.amdhsa_exception_fp_ieee_inexact 0
		.amdhsa_exception_int_div_zero 0
	.end_amdhsa_kernel
	.section	.text._ZN2at6native12_GLOBAL__N_121max_pool_forward_nchwIfiEEvT0_PKT_llliiiiiiiiiiPS4_Pl,"axG",@progbits,_ZN2at6native12_GLOBAL__N_121max_pool_forward_nchwIfiEEvT0_PKT_llliiiiiiiiiiPS4_Pl,comdat
.Lfunc_end6:
	.size	_ZN2at6native12_GLOBAL__N_121max_pool_forward_nchwIfiEEvT0_PKT_llliiiiiiiiiiPS4_Pl, .Lfunc_end6-_ZN2at6native12_GLOBAL__N_121max_pool_forward_nchwIfiEEvT0_PKT_llliiiiiiiiiiPS4_Pl
                                        ; -- End function
	.section	.AMDGPU.csdata,"",@progbits
; Kernel info:
; codeLenInByte = 2228
; NumSgprs: 62
; NumVgprs: 24
; NumAgprs: 0
; TotalNumVgprs: 24
; ScratchSize: 0
; MemoryBound: 0
; FloatMode: 240
; IeeeMode: 1
; LDSByteSize: 0 bytes/workgroup (compile time only)
; SGPRBlocks: 7
; VGPRBlocks: 2
; NumSGPRsForWavesPerEU: 62
; NumVGPRsForWavesPerEU: 24
; AccumOffset: 24
; Occupancy: 8
; WaveLimiterHint : 0
; COMPUTE_PGM_RSRC2:SCRATCH_EN: 0
; COMPUTE_PGM_RSRC2:USER_SGPR: 6
; COMPUTE_PGM_RSRC2:TRAP_HANDLER: 0
; COMPUTE_PGM_RSRC2:TGID_X_EN: 1
; COMPUTE_PGM_RSRC2:TGID_Y_EN: 0
; COMPUTE_PGM_RSRC2:TGID_Z_EN: 0
; COMPUTE_PGM_RSRC2:TIDIG_COMP_CNT: 0
; COMPUTE_PGM_RSRC3_GFX90A:ACCUM_OFFSET: 5
; COMPUTE_PGM_RSRC3_GFX90A:TG_SPLIT: 0
	.section	.text._ZN2at6native12_GLOBAL__N_121max_pool_forward_nchwIflEEvT0_PKT_llliiiiiiiiiiPS4_Pl,"axG",@progbits,_ZN2at6native12_GLOBAL__N_121max_pool_forward_nchwIflEEvT0_PKT_llliiiiiiiiiiPS4_Pl,comdat
	.globl	_ZN2at6native12_GLOBAL__N_121max_pool_forward_nchwIflEEvT0_PKT_llliiiiiiiiiiPS4_Pl ; -- Begin function _ZN2at6native12_GLOBAL__N_121max_pool_forward_nchwIflEEvT0_PKT_llliiiiiiiiiiPS4_Pl
	.p2align	8
	.type	_ZN2at6native12_GLOBAL__N_121max_pool_forward_nchwIflEEvT0_PKT_llliiiiiiiiiiPS4_Pl,@function
_ZN2at6native12_GLOBAL__N_121max_pool_forward_nchwIflEEvT0_PKT_llliiiiiiiiiiPS4_Pl: ; @_ZN2at6native12_GLOBAL__N_121max_pool_forward_nchwIflEEvT0_PKT_llliiiiiiiiiiPS4_Pl
; %bb.0:
	s_load_dword s2, s[4:5], 0x6c
	s_load_dwordx4 s[16:19], s[4:5], 0x0
	s_add_u32 s0, s4, 0x60
	v_mov_b32_e32 v2, 0
	s_addc_u32 s1, s5, 0
	s_waitcnt lgkmcnt(0)
	s_and_b32 s2, s2, 0xffff
	v_mov_b32_e32 v1, v2
	v_mov_b32_e32 v3, s6
	v_mad_u64_u32 v[0:1], s[6:7], s2, v3, v[0:1]
	v_cmp_gt_i64_e32 vcc, s[16:17], v[0:1]
	s_and_saveexec_b64 s[6:7], vcc
	s_cbranch_execz .LBB7_27
; %bb.1:
	s_load_dwordx8 s[8:15], s[4:5], 0x28
	s_load_dwordx4 s[20:23], s[4:5], 0x18
	s_load_dwordx2 s[6:7], s[4:5], 0x48
	s_load_dwordx4 s[24:27], s[4:5], 0x50
	s_load_dword s3, s[0:1], 0x0
	s_waitcnt lgkmcnt(0)
	v_cvt_f32_u32_e32 v3, s9
	s_add_i32 s0, s10, -1
	s_mul_i32 s51, s0, s6
	s_add_i32 s0, s11, -1
	s_mul_i32 s52, s0, s7
	s_ashr_i32 s11, s6, 31
	s_mov_b32 s10, s6
	v_rcp_iflag_f32_e32 v3, v3
	s_ashr_i32 s33, s9, 31
	s_ashr_i32 s42, s8, 31
	;; [unrolled: 1-line block ×5, first 2 shown]
	s_mov_b32 s48, s13
	s_ashr_i32 s49, s15, 31
	s_add_i32 s51, s51, 1
	s_add_i32 s52, s52, 1
	s_ashr_i32 s13, s7, 31
	v_cmp_gt_u64_e64 s[0:1], s[10:11], 1
	s_mov_b32 s44, s12
	s_mov_b32 s12, s7
	s_and_b64 s[0:1], s[0:1], exec
	v_cmp_gt_u64_e64 s[0:1], s[12:13], 1
	s_cselect_b32 s55, s11, 0
	s_cselect_b32 s56, s6, 1
	s_and_b64 s[0:1], s[0:1], exec
	v_mul_f32_e32 v3, 0x4f7ffffe, v3
	s_mul_i32 s0, s22, s21
	s_mul_hi_u32 s1, s22, s20
	v_cvt_u32_f32_e32 v18, v3
	s_cselect_b32 s57, s13, 0
	s_cselect_b32 s58, s7, 1
	s_add_i32 s0, s1, s0
	s_mul_i32 s1, s23, s20
	s_add_i32 s1, s0, s1
	s_mul_i32 s0, s22, s20
	s_mov_b32 s46, s14
	s_mov_b32 s50, s15
	s_mul_i32 s53, s3, s2
	s_mov_b32 s54, 0
	s_lshl_b64 s[14:15], s[0:1], 2
	s_lshl_b64 s[28:29], s[12:13], 2
	s_mov_b64 s[30:31], 0
	s_branch .LBB7_4
.LBB7_2:                                ;   in Loop: Header=BB7_4 Depth=1
	s_or_b64 exec, exec, s[36:37]
.LBB7_3:                                ;   in Loop: Header=BB7_4 Depth=1
	s_or_b64 exec, exec, s[34:35]
	v_lshlrev_b64 v[4:5], 2, v[0:1]
	v_mov_b32_e32 v3, s25
	v_add_co_u32_e32 v4, vcc, s24, v4
	v_addc_co_u32_e32 v5, vcc, v3, v5, vcc
	global_store_dword v[4:5], v16, off
	v_lshlrev_b64 v[4:5], 3, v[0:1]
	v_mov_b32_e32 v3, s27
	v_add_co_u32_e32 v4, vcc, s26, v4
	v_addc_co_u32_e32 v5, vcc, v3, v5, vcc
	v_mov_b32_e32 v3, s54
	v_add_co_u32_e32 v0, vcc, s53, v0
	v_addc_co_u32_e32 v1, vcc, v1, v3, vcc
	v_cmp_le_i64_e32 vcc, s[16:17], v[0:1]
	s_or_b64 s[30:31], vcc, s[30:31]
	global_store_dwordx2 v[4:5], v[8:9], off
	s_andn2_b64 exec, exec, s[30:31]
	s_cbranch_execz .LBB7_27
.LBB7_4:                                ; =>This Loop Header: Depth=1
                                        ;     Child Loop BB7_23 Depth 2
                                        ;       Child Loop BB7_25 Depth 3
	v_or_b32_e32 v3, s33, v1
	v_cmp_ne_u64_e32 vcc, 0, v[2:3]
                                        ; implicit-def: $vgpr6_vgpr7
	s_and_saveexec_b64 s[0:1], vcc
	s_xor_b64 s[2:3], exec, s[0:1]
	s_cbranch_execz .LBB7_6
; %bb.5:                                ;   in Loop: Header=BB7_4 Depth=1
	s_add_u32 s0, s9, s33
	s_mov_b32 s4, s33
	s_mov_b32 s5, s33
	s_addc_u32 s1, s33, s33
	s_xor_b64 s[34:35], s[0:1], s[4:5]
	v_cvt_f32_u32_e32 v3, s34
	v_cvt_f32_u32_e32 v4, s35
	s_sub_u32 s0, 0, s34
	s_subb_u32 s1, 0, s35
	v_mac_f32_e32 v3, 0x4f800000, v4
	v_rcp_f32_e32 v3, v3
	v_mul_f32_e32 v3, 0x5f7ffffc, v3
	v_mul_f32_e32 v4, 0x2f800000, v3
	v_trunc_f32_e32 v4, v4
	v_mac_f32_e32 v3, 0xcf800000, v4
	v_cvt_u32_f32_e32 v4, v4
	v_cvt_u32_f32_e32 v3, v3
	v_mul_lo_u32 v5, s0, v4
	v_mul_hi_u32 v7, s0, v3
	v_mul_lo_u32 v6, s1, v3
	v_add_u32_e32 v5, v7, v5
	v_mul_lo_u32 v8, s0, v3
	v_add_u32_e32 v5, v5, v6
	v_mul_lo_u32 v7, v3, v5
	v_mul_hi_u32 v9, v3, v8
	v_mul_hi_u32 v6, v3, v5
	v_add_co_u32_e32 v7, vcc, v9, v7
	v_addc_co_u32_e32 v6, vcc, 0, v6, vcc
	v_mul_hi_u32 v10, v4, v8
	v_mul_lo_u32 v8, v4, v8
	v_add_co_u32_e32 v7, vcc, v7, v8
	v_mul_hi_u32 v9, v4, v5
	v_addc_co_u32_e32 v6, vcc, v6, v10, vcc
	v_addc_co_u32_e32 v7, vcc, 0, v9, vcc
	v_mul_lo_u32 v5, v4, v5
	v_add_co_u32_e32 v5, vcc, v6, v5
	v_addc_co_u32_e32 v6, vcc, 0, v7, vcc
	v_add_co_u32_e32 v3, vcc, v3, v5
	v_addc_co_u32_e32 v4, vcc, v4, v6, vcc
	v_mul_lo_u32 v5, s0, v4
	v_mul_hi_u32 v6, s0, v3
	v_add_u32_e32 v5, v6, v5
	v_mul_lo_u32 v6, s1, v3
	v_add_u32_e32 v5, v5, v6
	v_mul_lo_u32 v7, s0, v3
	v_mul_hi_u32 v8, v4, v7
	v_mul_lo_u32 v9, v4, v7
	v_mul_lo_u32 v11, v3, v5
	v_mul_hi_u32 v7, v3, v7
	v_mul_hi_u32 v10, v3, v5
	v_add_co_u32_e32 v7, vcc, v7, v11
	v_addc_co_u32_e32 v10, vcc, 0, v10, vcc
	v_add_co_u32_e32 v7, vcc, v7, v9
	v_mul_hi_u32 v6, v4, v5
	v_addc_co_u32_e32 v7, vcc, v10, v8, vcc
	v_addc_co_u32_e32 v6, vcc, 0, v6, vcc
	v_mul_lo_u32 v5, v4, v5
	v_add_co_u32_e32 v5, vcc, v7, v5
	v_addc_co_u32_e32 v6, vcc, 0, v6, vcc
	v_add_co_u32_e32 v3, vcc, v3, v5
	v_addc_co_u32_e32 v6, vcc, v4, v6, vcc
	v_ashrrev_i32_e32 v8, 31, v1
	v_add_co_u32_e32 v4, vcc, v0, v8
	v_addc_co_u32_e32 v5, vcc, v1, v8, vcc
	v_xor_b32_e32 v10, v4, v8
	v_xor_b32_e32 v9, v5, v8
	v_mad_u64_u32 v[4:5], s[0:1], v10, v6, 0
	v_mul_hi_u32 v7, v10, v3
	v_add_co_u32_e32 v11, vcc, v7, v4
	v_addc_co_u32_e32 v12, vcc, 0, v5, vcc
	v_mad_u64_u32 v[4:5], s[0:1], v9, v6, 0
	v_mad_u64_u32 v[6:7], s[0:1], v9, v3, 0
	v_add_co_u32_e32 v3, vcc, v11, v6
	v_addc_co_u32_e32 v3, vcc, v12, v7, vcc
	v_addc_co_u32_e32 v5, vcc, 0, v5, vcc
	v_add_co_u32_e32 v3, vcc, v3, v4
	v_addc_co_u32_e32 v6, vcc, 0, v5, vcc
	v_mul_lo_u32 v7, s35, v3
	v_mul_lo_u32 v11, s34, v6
	v_mad_u64_u32 v[4:5], s[0:1], s34, v3, 0
	v_add3_u32 v5, v5, v11, v7
	v_sub_u32_e32 v7, v9, v5
	v_mov_b32_e32 v11, s35
	v_sub_co_u32_e32 v4, vcc, v10, v4
	v_subb_co_u32_e64 v7, s[0:1], v7, v11, vcc
	v_subrev_co_u32_e64 v10, s[0:1], s34, v4
	v_subbrev_co_u32_e64 v7, s[0:1], 0, v7, s[0:1]
	v_cmp_le_u32_e64 s[0:1], s35, v7
	v_cndmask_b32_e64 v11, 0, -1, s[0:1]
	v_cmp_le_u32_e64 s[0:1], s34, v10
	v_cndmask_b32_e64 v10, 0, -1, s[0:1]
	v_cmp_eq_u32_e64 s[0:1], s35, v7
	v_cndmask_b32_e64 v7, v11, v10, s[0:1]
	v_add_co_u32_e64 v10, s[0:1], 2, v3
	v_subb_co_u32_e32 v5, vcc, v9, v5, vcc
	v_addc_co_u32_e64 v11, s[0:1], 0, v6, s[0:1]
	v_cmp_le_u32_e32 vcc, s35, v5
	v_add_co_u32_e64 v12, s[0:1], 1, v3
	v_cndmask_b32_e64 v9, 0, -1, vcc
	v_cmp_le_u32_e32 vcc, s34, v4
	v_addc_co_u32_e64 v13, s[0:1], 0, v6, s[0:1]
	v_cndmask_b32_e64 v4, 0, -1, vcc
	v_cmp_eq_u32_e32 vcc, s35, v5
	v_cmp_ne_u32_e64 s[0:1], 0, v7
	v_cndmask_b32_e32 v4, v9, v4, vcc
	v_cndmask_b32_e64 v7, v13, v11, s[0:1]
	v_cmp_ne_u32_e32 vcc, 0, v4
	v_cndmask_b32_e64 v5, v12, v10, s[0:1]
	v_cndmask_b32_e32 v4, v6, v7, vcc
	v_cndmask_b32_e32 v3, v3, v5, vcc
	v_xor_b32_e32 v6, s4, v8
	v_xor_b32_e32 v5, s5, v8
	v_xor_b32_e32 v3, v3, v6
	v_xor_b32_e32 v4, v4, v5
	v_sub_co_u32_e32 v6, vcc, v3, v6
	v_subb_co_u32_e32 v7, vcc, v4, v5, vcc
.LBB7_6:                                ;   in Loop: Header=BB7_4 Depth=1
	s_andn2_saveexec_b64 s[0:1], s[2:3]
	s_cbranch_execz .LBB7_8
; %bb.7:                                ;   in Loop: Header=BB7_4 Depth=1
	s_sub_i32 s2, 0, s9
	v_mul_lo_u32 v3, s2, v18
	v_mul_hi_u32 v3, v18, v3
	v_add_u32_e32 v3, v18, v3
	v_mul_hi_u32 v3, v0, v3
	v_mul_lo_u32 v4, v3, s9
	v_sub_u32_e32 v4, v0, v4
	v_subrev_u32_e32 v5, s9, v4
	v_cmp_le_u32_e32 vcc, s9, v4
	v_cndmask_b32_e32 v4, v4, v5, vcc
	v_add_u32_e32 v5, 1, v3
	v_cndmask_b32_e32 v3, v3, v5, vcc
	v_add_u32_e32 v5, 1, v3
	v_cmp_le_u32_e32 vcc, s9, v4
	v_cndmask_b32_e32 v6, v3, v5, vcc
	v_mov_b32_e32 v7, v2
.LBB7_8:                                ;   in Loop: Header=BB7_4 Depth=1
	s_or_b64 exec, exec, s[0:1]
	v_or_b32_e32 v3, s42, v7
	v_cmp_ne_u64_e32 vcc, 0, v[2:3]
                                        ; implicit-def: $vgpr4_vgpr5
	s_and_saveexec_b64 s[0:1], vcc
	s_xor_b64 s[2:3], exec, s[0:1]
	s_cbranch_execz .LBB7_10
; %bb.9:                                ;   in Loop: Header=BB7_4 Depth=1
	s_add_u32 s0, s8, s42
	s_mov_b32 s4, s42
	s_mov_b32 s5, s42
	s_addc_u32 s1, s42, s42
	s_xor_b64 s[34:35], s[0:1], s[4:5]
	v_cvt_f32_u32_e32 v3, s34
	v_cvt_f32_u32_e32 v4, s35
	s_sub_u32 s0, 0, s34
	s_subb_u32 s1, 0, s35
	v_mac_f32_e32 v3, 0x4f800000, v4
	v_rcp_f32_e32 v3, v3
	v_mul_f32_e32 v3, 0x5f7ffffc, v3
	v_mul_f32_e32 v4, 0x2f800000, v3
	v_trunc_f32_e32 v4, v4
	v_mac_f32_e32 v3, 0xcf800000, v4
	v_cvt_u32_f32_e32 v4, v4
	v_cvt_u32_f32_e32 v3, v3
	v_mul_lo_u32 v5, s0, v4
	v_mul_hi_u32 v9, s0, v3
	v_mul_lo_u32 v8, s1, v3
	v_add_u32_e32 v5, v9, v5
	v_mul_lo_u32 v10, s0, v3
	v_add_u32_e32 v5, v5, v8
	v_mul_lo_u32 v9, v3, v5
	v_mul_hi_u32 v11, v3, v10
	v_mul_hi_u32 v8, v3, v5
	v_add_co_u32_e32 v9, vcc, v11, v9
	v_addc_co_u32_e32 v8, vcc, 0, v8, vcc
	v_mul_hi_u32 v12, v4, v10
	v_mul_lo_u32 v10, v4, v10
	v_add_co_u32_e32 v9, vcc, v9, v10
	v_mul_hi_u32 v11, v4, v5
	v_addc_co_u32_e32 v8, vcc, v8, v12, vcc
	v_addc_co_u32_e32 v9, vcc, 0, v11, vcc
	v_mul_lo_u32 v5, v4, v5
	v_add_co_u32_e32 v5, vcc, v8, v5
	v_addc_co_u32_e32 v8, vcc, 0, v9, vcc
	v_add_co_u32_e32 v3, vcc, v3, v5
	v_addc_co_u32_e32 v4, vcc, v4, v8, vcc
	v_mul_lo_u32 v5, s0, v4
	v_mul_hi_u32 v8, s0, v3
	v_add_u32_e32 v5, v8, v5
	v_mul_lo_u32 v8, s1, v3
	v_add_u32_e32 v5, v5, v8
	v_mul_lo_u32 v9, s0, v3
	v_mul_hi_u32 v10, v4, v9
	v_mul_lo_u32 v11, v4, v9
	v_mul_lo_u32 v13, v3, v5
	v_mul_hi_u32 v9, v3, v9
	v_mul_hi_u32 v12, v3, v5
	v_add_co_u32_e32 v9, vcc, v9, v13
	v_addc_co_u32_e32 v12, vcc, 0, v12, vcc
	v_add_co_u32_e32 v9, vcc, v9, v11
	v_mul_hi_u32 v8, v4, v5
	v_addc_co_u32_e32 v9, vcc, v12, v10, vcc
	v_addc_co_u32_e32 v8, vcc, 0, v8, vcc
	v_mul_lo_u32 v5, v4, v5
	v_add_co_u32_e32 v5, vcc, v9, v5
	v_addc_co_u32_e32 v8, vcc, 0, v8, vcc
	v_add_co_u32_e32 v3, vcc, v3, v5
	v_addc_co_u32_e32 v8, vcc, v4, v8, vcc
	v_ashrrev_i32_e32 v10, 31, v7
	v_add_co_u32_e32 v4, vcc, v6, v10
	v_addc_co_u32_e32 v5, vcc, v7, v10, vcc
	v_xor_b32_e32 v12, v4, v10
	v_xor_b32_e32 v11, v5, v10
	v_mad_u64_u32 v[4:5], s[0:1], v12, v8, 0
	v_mul_hi_u32 v9, v12, v3
	v_add_co_u32_e32 v13, vcc, v9, v4
	v_addc_co_u32_e32 v14, vcc, 0, v5, vcc
	v_mad_u64_u32 v[4:5], s[0:1], v11, v8, 0
	v_mad_u64_u32 v[8:9], s[0:1], v11, v3, 0
	v_add_co_u32_e32 v3, vcc, v13, v8
	v_addc_co_u32_e32 v3, vcc, v14, v9, vcc
	v_addc_co_u32_e32 v5, vcc, 0, v5, vcc
	v_add_co_u32_e32 v3, vcc, v3, v4
	v_addc_co_u32_e32 v8, vcc, 0, v5, vcc
	v_mul_lo_u32 v9, s35, v3
	v_mul_lo_u32 v13, s34, v8
	v_mad_u64_u32 v[4:5], s[0:1], s34, v3, 0
	v_add3_u32 v5, v5, v13, v9
	v_sub_u32_e32 v9, v11, v5
	v_mov_b32_e32 v13, s35
	v_sub_co_u32_e32 v4, vcc, v12, v4
	v_subb_co_u32_e64 v9, s[0:1], v9, v13, vcc
	v_subrev_co_u32_e64 v12, s[0:1], s34, v4
	v_subbrev_co_u32_e64 v9, s[0:1], 0, v9, s[0:1]
	v_cmp_le_u32_e64 s[0:1], s35, v9
	v_cndmask_b32_e64 v13, 0, -1, s[0:1]
	v_cmp_le_u32_e64 s[0:1], s34, v12
	v_cndmask_b32_e64 v12, 0, -1, s[0:1]
	v_cmp_eq_u32_e64 s[0:1], s35, v9
	v_cndmask_b32_e64 v9, v13, v12, s[0:1]
	v_add_co_u32_e64 v12, s[0:1], 2, v3
	v_subb_co_u32_e32 v5, vcc, v11, v5, vcc
	v_addc_co_u32_e64 v13, s[0:1], 0, v8, s[0:1]
	v_cmp_le_u32_e32 vcc, s35, v5
	v_add_co_u32_e64 v14, s[0:1], 1, v3
	v_cndmask_b32_e64 v11, 0, -1, vcc
	v_cmp_le_u32_e32 vcc, s34, v4
	v_addc_co_u32_e64 v15, s[0:1], 0, v8, s[0:1]
	v_cndmask_b32_e64 v4, 0, -1, vcc
	v_cmp_eq_u32_e32 vcc, s35, v5
	v_cmp_ne_u32_e64 s[0:1], 0, v9
	v_cndmask_b32_e32 v4, v11, v4, vcc
	v_cndmask_b32_e64 v9, v15, v13, s[0:1]
	v_cmp_ne_u32_e32 vcc, 0, v4
	v_cndmask_b32_e64 v5, v14, v12, s[0:1]
	v_cndmask_b32_e32 v4, v8, v9, vcc
	v_cndmask_b32_e32 v3, v3, v5, vcc
	v_xor_b32_e32 v8, s4, v10
	v_xor_b32_e32 v5, s5, v10
	;; [unrolled: 1-line block ×4, first 2 shown]
	v_sub_co_u32_e32 v4, vcc, v3, v8
	v_subb_co_u32_e32 v5, vcc, v9, v5, vcc
.LBB7_10:                               ;   in Loop: Header=BB7_4 Depth=1
	s_andn2_saveexec_b64 s[0:1], s[2:3]
	s_cbranch_execz .LBB7_12
; %bb.11:                               ;   in Loop: Header=BB7_4 Depth=1
	v_cvt_f32_u32_e32 v3, s8
	s_sub_i32 s2, 0, s8
	v_rcp_iflag_f32_e32 v3, v3
	v_mul_f32_e32 v3, 0x4f7ffffe, v3
	v_cvt_u32_f32_e32 v3, v3
	v_mul_lo_u32 v4, s2, v3
	v_mul_hi_u32 v4, v3, v4
	v_add_u32_e32 v3, v3, v4
	v_mul_hi_u32 v3, v6, v3
	v_mul_lo_u32 v4, v3, s8
	v_sub_u32_e32 v4, v6, v4
	v_add_u32_e32 v5, 1, v3
	v_subrev_u32_e32 v8, s8, v4
	v_cmp_le_u32_e32 vcc, s8, v4
	v_cndmask_b32_e32 v4, v4, v8, vcc
	v_cndmask_b32_e32 v3, v3, v5, vcc
	v_add_u32_e32 v5, 1, v3
	v_cmp_le_u32_e32 vcc, s8, v4
	v_cndmask_b32_e32 v4, v3, v5, vcc
	v_mov_b32_e32 v5, v2
.LBB7_12:                               ;   in Loop: Header=BB7_4 Depth=1
	s_or_b64 exec, exec, s[0:1]
	v_mul_lo_u32 v3, v5, s8
	v_mul_lo_u32 v10, v4, s42
	v_mad_u64_u32 v[8:9], s[0:1], v4, s8, 0
	v_add3_u32 v3, v9, v10, v3
	v_sub_co_u32_e32 v14, vcc, v6, v8
	v_subb_co_u32_e32 v3, vcc, v7, v3, vcc
	v_mul_lo_u32 v3, v3, s44
	v_mul_lo_u32 v16, v14, s43
	v_mad_u64_u32 v[10:11], s[0:1], v14, s44, 0
	v_add3_u32 v11, v11, v16, v3
	v_mov_b32_e32 v13, s45
	v_subrev_co_u32_e32 v8, vcc, s46, v10
	v_subb_co_u32_e32 v9, vcc, v11, v13, vcc
	v_cmp_lt_i64_e32 vcc, 0, v[8:9]
	v_cndmask_b32_e32 v12, 0, v8, vcc
	v_cndmask_b32_e32 v15, 0, v9, vcc
	v_add_co_u32_e32 v12, vcc, s46, v12
	v_addc_co_u32_e32 v13, vcc, v15, v13, vcc
	v_cmp_ne_u64_e32 vcc, v[12:13], v[10:11]
	v_cndmask_b32_e64 v10, 0, 1, vcc
	v_mov_b32_e32 v11, s54
	v_mad_u64_u32 v[14:15], s[0:1], v14, s44, v[10:11]
	v_add3_u32 v3, v3, v15, v16
	v_sub_co_u32_e32 v11, vcc, v12, v14
	v_subb_co_u32_e32 v14, vcc, v13, v3, vcc
	v_or_b32_e32 v3, s55, v14
	v_cmp_ne_u64_e32 vcc, 0, v[2:3]
                                        ; implicit-def: $vgpr12_vgpr13
	s_and_saveexec_b64 s[0:1], vcc
	s_xor_b64 s[2:3], exec, s[0:1]
	s_cbranch_execz .LBB7_14
; %bb.13:                               ;   in Loop: Header=BB7_4 Depth=1
	v_cvt_f32_u32_e32 v3, s56
	v_cvt_f32_u32_e32 v12, s55
	s_sub_u32 s0, 0, s56
	s_subb_u32 s1, 0, s55
	v_mac_f32_e32 v3, 0x4f800000, v12
	v_rcp_f32_e32 v3, v3
	v_mul_f32_e32 v3, 0x5f7ffffc, v3
	v_mul_f32_e32 v12, 0x2f800000, v3
	v_trunc_f32_e32 v12, v12
	v_mac_f32_e32 v3, 0xcf800000, v12
	v_cvt_u32_f32_e32 v12, v12
	v_cvt_u32_f32_e32 v3, v3
	v_mul_lo_u32 v13, s0, v12
	v_mul_hi_u32 v16, s0, v3
	v_mul_lo_u32 v15, s1, v3
	v_add_u32_e32 v13, v16, v13
	v_mul_lo_u32 v17, s0, v3
	v_add_u32_e32 v13, v13, v15
	v_mul_hi_u32 v16, v3, v17
	v_mul_lo_u32 v19, v3, v13
	v_mul_hi_u32 v15, v3, v13
	v_add_co_u32_e32 v16, vcc, v16, v19
	v_addc_co_u32_e32 v15, vcc, 0, v15, vcc
	v_mul_hi_u32 v20, v12, v17
	v_mul_lo_u32 v17, v12, v17
	v_add_co_u32_e32 v16, vcc, v16, v17
	v_mul_hi_u32 v19, v12, v13
	v_addc_co_u32_e32 v15, vcc, v15, v20, vcc
	v_addc_co_u32_e32 v16, vcc, 0, v19, vcc
	v_mul_lo_u32 v13, v12, v13
	v_add_co_u32_e32 v13, vcc, v15, v13
	v_addc_co_u32_e32 v15, vcc, 0, v16, vcc
	v_add_co_u32_e32 v3, vcc, v3, v13
	v_addc_co_u32_e32 v12, vcc, v12, v15, vcc
	v_mul_lo_u32 v13, s0, v12
	v_mul_hi_u32 v15, s0, v3
	v_add_u32_e32 v13, v15, v13
	v_mul_lo_u32 v15, s1, v3
	v_add_u32_e32 v13, v13, v15
	v_mul_lo_u32 v16, s0, v3
	v_mul_hi_u32 v17, v12, v16
	v_mul_lo_u32 v19, v12, v16
	v_mul_lo_u32 v21, v3, v13
	v_mul_hi_u32 v16, v3, v16
	v_mul_hi_u32 v20, v3, v13
	v_add_co_u32_e32 v16, vcc, v16, v21
	v_addc_co_u32_e32 v20, vcc, 0, v20, vcc
	v_add_co_u32_e32 v16, vcc, v16, v19
	v_mul_hi_u32 v15, v12, v13
	v_addc_co_u32_e32 v16, vcc, v20, v17, vcc
	v_addc_co_u32_e32 v15, vcc, 0, v15, vcc
	v_mul_lo_u32 v13, v12, v13
	v_add_co_u32_e32 v13, vcc, v16, v13
	v_addc_co_u32_e32 v15, vcc, 0, v15, vcc
	v_add_co_u32_e32 v3, vcc, v3, v13
	v_addc_co_u32_e32 v15, vcc, v12, v15, vcc
	v_mad_u64_u32 v[12:13], s[0:1], v11, v15, 0
	v_mul_hi_u32 v16, v11, v3
	v_add_co_u32_e32 v19, vcc, v16, v12
	v_addc_co_u32_e32 v20, vcc, 0, v13, vcc
	v_mad_u64_u32 v[16:17], s[0:1], v14, v3, 0
	v_add_co_u32_e32 v3, vcc, v19, v16
	v_mad_u64_u32 v[12:13], s[0:1], v14, v15, 0
	v_addc_co_u32_e32 v3, vcc, v20, v17, vcc
	v_addc_co_u32_e32 v13, vcc, 0, v13, vcc
	v_add_co_u32_e32 v3, vcc, v3, v12
	v_addc_co_u32_e32 v15, vcc, 0, v13, vcc
	v_mul_lo_u32 v16, s55, v3
	v_mul_lo_u32 v17, s56, v15
	v_mad_u64_u32 v[12:13], s[0:1], s56, v3, 0
	v_add3_u32 v13, v13, v17, v16
	v_sub_u32_e32 v16, v14, v13
	v_mov_b32_e32 v17, s55
	v_sub_co_u32_e32 v11, vcc, v11, v12
	v_subb_co_u32_e64 v12, s[0:1], v16, v17, vcc
	v_subrev_co_u32_e64 v16, s[0:1], s56, v11
	v_subbrev_co_u32_e64 v12, s[0:1], 0, v12, s[0:1]
	v_cmp_le_u32_e64 s[0:1], s55, v12
	v_cndmask_b32_e64 v17, 0, -1, s[0:1]
	v_cmp_le_u32_e64 s[0:1], s56, v16
	v_cndmask_b32_e64 v16, 0, -1, s[0:1]
	v_cmp_eq_u32_e64 s[0:1], s55, v12
	v_cndmask_b32_e64 v12, v17, v16, s[0:1]
	v_add_co_u32_e64 v16, s[0:1], 2, v3
	v_subb_co_u32_e32 v13, vcc, v14, v13, vcc
	v_addc_co_u32_e64 v17, s[0:1], 0, v15, s[0:1]
	v_cmp_le_u32_e32 vcc, s55, v13
	v_add_co_u32_e64 v19, s[0:1], 1, v3
	v_cndmask_b32_e64 v14, 0, -1, vcc
	v_cmp_le_u32_e32 vcc, s56, v11
	v_addc_co_u32_e64 v20, s[0:1], 0, v15, s[0:1]
	v_cndmask_b32_e64 v11, 0, -1, vcc
	v_cmp_eq_u32_e32 vcc, s55, v13
	v_cmp_ne_u32_e64 s[0:1], 0, v12
	v_cndmask_b32_e32 v11, v14, v11, vcc
	v_cndmask_b32_e64 v12, v20, v17, s[0:1]
	v_cmp_ne_u32_e32 vcc, 0, v11
	v_cndmask_b32_e64 v11, v19, v16, s[0:1]
	v_cndmask_b32_e32 v13, v15, v12, vcc
	v_cndmask_b32_e32 v12, v3, v11, vcc
                                        ; implicit-def: $vgpr11
.LBB7_14:                               ;   in Loop: Header=BB7_4 Depth=1
	s_andn2_saveexec_b64 s[0:1], s[2:3]
	s_cbranch_execz .LBB7_16
; %bb.15:                               ;   in Loop: Header=BB7_4 Depth=1
	v_cvt_f32_u32_e32 v3, s56
	s_sub_i32 s2, 0, s56
	v_rcp_iflag_f32_e32 v3, v3
	v_mul_f32_e32 v3, 0x4f7ffffe, v3
	v_cvt_u32_f32_e32 v3, v3
	v_mul_lo_u32 v12, s2, v3
	v_mul_hi_u32 v12, v3, v12
	v_add_u32_e32 v3, v3, v12
	v_mul_hi_u32 v3, v11, v3
	v_mul_lo_u32 v12, v3, s56
	v_sub_u32_e32 v11, v11, v12
	v_add_u32_e32 v13, 1, v3
	v_subrev_u32_e32 v12, s56, v11
	v_cmp_le_u32_e32 vcc, s56, v11
	v_cndmask_b32_e32 v11, v11, v12, vcc
	v_cndmask_b32_e32 v3, v3, v13, vcc
	v_add_u32_e32 v12, 1, v3
	v_cmp_le_u32_e32 vcc, s56, v11
	v_cndmask_b32_e32 v12, v3, v12, vcc
	v_mov_b32_e32 v13, v2
.LBB7_16:                               ;   in Loop: Header=BB7_4 Depth=1
	s_or_b64 exec, exec, s[0:1]
	v_mul_lo_u32 v3, v7, s9
	v_mul_lo_u32 v11, v6, s33
	v_mad_u64_u32 v[6:7], s[0:1], v6, s9, 0
	v_add3_u32 v3, v7, v11, v3
	v_sub_co_u32_e32 v11, vcc, v0, v6
	v_subb_co_u32_e32 v3, vcc, v1, v3, vcc
	v_mul_lo_u32 v3, v3, s48
	v_mul_lo_u32 v19, v11, s47
	v_mad_u64_u32 v[14:15], s[0:1], v11, s48, 0
	v_add3_u32 v15, v15, v19, v3
	v_mov_b32_e32 v17, s49
	v_subrev_co_u32_e32 v6, vcc, s50, v14
	v_subb_co_u32_e32 v7, vcc, v15, v17, vcc
	v_cmp_lt_i64_e32 vcc, 0, v[6:7]
	v_cndmask_b32_e32 v16, 0, v6, vcc
	v_cndmask_b32_e32 v20, 0, v7, vcc
	v_add_co_u32_e32 v16, vcc, s50, v16
	v_addc_co_u32_e32 v17, vcc, v20, v17, vcc
	v_cmp_ne_u64_e32 vcc, v[16:17], v[14:15]
	v_cndmask_b32_e64 v14, 0, 1, vcc
	v_mov_b32_e32 v15, s54
	v_mad_u64_u32 v[20:21], s[0:1], v11, s48, v[14:15]
	v_add3_u32 v3, v3, v21, v19
	v_sub_co_u32_e32 v11, vcc, v16, v20
	v_subb_co_u32_e32 v15, vcc, v17, v3, vcc
	v_or_b32_e32 v3, s57, v15
	v_cmp_ne_u64_e32 vcc, 0, v[2:3]
                                        ; implicit-def: $vgpr16_vgpr17
	s_and_saveexec_b64 s[0:1], vcc
	s_xor_b64 s[2:3], exec, s[0:1]
	s_cbranch_execz .LBB7_18
; %bb.17:                               ;   in Loop: Header=BB7_4 Depth=1
	v_cvt_f32_u32_e32 v3, s58
	v_cvt_f32_u32_e32 v16, s57
	s_sub_u32 s0, 0, s58
	s_subb_u32 s1, 0, s57
	v_mac_f32_e32 v3, 0x4f800000, v16
	v_rcp_f32_e32 v3, v3
	v_mul_f32_e32 v3, 0x5f7ffffc, v3
	v_mul_f32_e32 v16, 0x2f800000, v3
	v_trunc_f32_e32 v16, v16
	v_mac_f32_e32 v3, 0xcf800000, v16
	v_cvt_u32_f32_e32 v16, v16
	v_cvt_u32_f32_e32 v3, v3
	v_mul_lo_u32 v17, s0, v16
	v_mul_hi_u32 v20, s0, v3
	v_mul_lo_u32 v19, s1, v3
	v_add_u32_e32 v17, v20, v17
	v_mul_lo_u32 v21, s0, v3
	v_add_u32_e32 v17, v17, v19
	v_mul_hi_u32 v20, v3, v21
	v_mul_lo_u32 v22, v3, v17
	v_mul_hi_u32 v19, v3, v17
	v_add_co_u32_e32 v20, vcc, v20, v22
	v_addc_co_u32_e32 v19, vcc, 0, v19, vcc
	v_mul_hi_u32 v23, v16, v21
	v_mul_lo_u32 v21, v16, v21
	v_add_co_u32_e32 v20, vcc, v20, v21
	v_mul_hi_u32 v22, v16, v17
	v_addc_co_u32_e32 v19, vcc, v19, v23, vcc
	v_addc_co_u32_e32 v20, vcc, 0, v22, vcc
	v_mul_lo_u32 v17, v16, v17
	v_add_co_u32_e32 v17, vcc, v19, v17
	v_addc_co_u32_e32 v19, vcc, 0, v20, vcc
	v_add_co_u32_e32 v3, vcc, v3, v17
	v_addc_co_u32_e32 v16, vcc, v16, v19, vcc
	v_mul_lo_u32 v17, s0, v16
	v_mul_hi_u32 v19, s0, v3
	v_add_u32_e32 v17, v19, v17
	v_mul_lo_u32 v19, s1, v3
	v_add_u32_e32 v17, v17, v19
	v_mul_lo_u32 v20, s0, v3
	v_mul_hi_u32 v21, v16, v20
	v_mul_lo_u32 v22, v16, v20
	v_mul_lo_u32 v24, v3, v17
	v_mul_hi_u32 v20, v3, v20
	v_mul_hi_u32 v23, v3, v17
	v_add_co_u32_e32 v20, vcc, v20, v24
	v_addc_co_u32_e32 v23, vcc, 0, v23, vcc
	v_add_co_u32_e32 v20, vcc, v20, v22
	v_mul_hi_u32 v19, v16, v17
	v_addc_co_u32_e32 v20, vcc, v23, v21, vcc
	v_addc_co_u32_e32 v19, vcc, 0, v19, vcc
	v_mul_lo_u32 v17, v16, v17
	v_add_co_u32_e32 v17, vcc, v20, v17
	v_addc_co_u32_e32 v19, vcc, 0, v19, vcc
	v_add_co_u32_e32 v3, vcc, v3, v17
	v_addc_co_u32_e32 v19, vcc, v16, v19, vcc
	v_mad_u64_u32 v[16:17], s[0:1], v11, v19, 0
	v_mul_hi_u32 v20, v11, v3
	v_add_co_u32_e32 v22, vcc, v20, v16
	v_addc_co_u32_e32 v23, vcc, 0, v17, vcc
	v_mad_u64_u32 v[20:21], s[0:1], v15, v3, 0
	v_add_co_u32_e32 v3, vcc, v22, v20
	v_mad_u64_u32 v[16:17], s[0:1], v15, v19, 0
	v_addc_co_u32_e32 v3, vcc, v23, v21, vcc
	v_addc_co_u32_e32 v17, vcc, 0, v17, vcc
	v_add_co_u32_e32 v3, vcc, v3, v16
	v_addc_co_u32_e32 v19, vcc, 0, v17, vcc
	v_mul_lo_u32 v20, s57, v3
	v_mul_lo_u32 v21, s58, v19
	v_mad_u64_u32 v[16:17], s[0:1], s58, v3, 0
	v_add3_u32 v17, v17, v21, v20
	v_sub_u32_e32 v20, v15, v17
	v_mov_b32_e32 v21, s57
	v_sub_co_u32_e32 v11, vcc, v11, v16
	v_subb_co_u32_e64 v16, s[0:1], v20, v21, vcc
	v_subrev_co_u32_e64 v20, s[0:1], s58, v11
	v_subbrev_co_u32_e64 v16, s[0:1], 0, v16, s[0:1]
	v_cmp_le_u32_e64 s[0:1], s57, v16
	v_cndmask_b32_e64 v21, 0, -1, s[0:1]
	v_cmp_le_u32_e64 s[0:1], s58, v20
	v_cndmask_b32_e64 v20, 0, -1, s[0:1]
	v_cmp_eq_u32_e64 s[0:1], s57, v16
	v_cndmask_b32_e64 v16, v21, v20, s[0:1]
	v_add_co_u32_e64 v20, s[0:1], 2, v3
	v_subb_co_u32_e32 v15, vcc, v15, v17, vcc
	v_addc_co_u32_e64 v21, s[0:1], 0, v19, s[0:1]
	v_cmp_le_u32_e32 vcc, s57, v15
	v_add_co_u32_e64 v22, s[0:1], 1, v3
	v_cndmask_b32_e64 v17, 0, -1, vcc
	v_cmp_le_u32_e32 vcc, s58, v11
	v_addc_co_u32_e64 v23, s[0:1], 0, v19, s[0:1]
	v_cndmask_b32_e64 v11, 0, -1, vcc
	v_cmp_eq_u32_e32 vcc, s57, v15
	v_cmp_ne_u32_e64 s[0:1], 0, v16
	v_cndmask_b32_e32 v11, v17, v11, vcc
	v_cndmask_b32_e64 v16, v23, v21, s[0:1]
	v_cmp_ne_u32_e32 vcc, 0, v11
	v_cndmask_b32_e64 v11, v22, v20, s[0:1]
	v_cndmask_b32_e32 v17, v19, v16, vcc
	v_cndmask_b32_e32 v16, v3, v11, vcc
                                        ; implicit-def: $vgpr11
.LBB7_18:                               ;   in Loop: Header=BB7_4 Depth=1
	s_andn2_saveexec_b64 s[0:1], s[2:3]
	s_cbranch_execz .LBB7_20
; %bb.19:                               ;   in Loop: Header=BB7_4 Depth=1
	v_cvt_f32_u32_e32 v3, s58
	s_sub_i32 s2, 0, s58
	v_mov_b32_e32 v17, v2
	v_rcp_iflag_f32_e32 v3, v3
	v_mul_f32_e32 v3, 0x4f7ffffe, v3
	v_cvt_u32_f32_e32 v3, v3
	v_mul_lo_u32 v15, s2, v3
	v_mul_hi_u32 v15, v3, v15
	v_add_u32_e32 v3, v3, v15
	v_mul_hi_u32 v3, v11, v3
	v_mul_lo_u32 v15, v3, s58
	v_sub_u32_e32 v11, v11, v15
	v_add_u32_e32 v16, 1, v3
	v_subrev_u32_e32 v15, s58, v11
	v_cmp_le_u32_e32 vcc, s58, v11
	v_cndmask_b32_e32 v11, v11, v15, vcc
	v_cndmask_b32_e32 v3, v3, v16, vcc
	v_add_u32_e32 v15, 1, v3
	v_cmp_le_u32_e32 vcc, s58, v11
	v_cndmask_b32_e32 v16, v3, v15, vcc
.LBB7_20:                               ;   in Loop: Header=BB7_4 Depth=1
	s_or_b64 exec, exec, s[0:1]
	v_add_co_u32_e32 v3, vcc, v12, v10
	v_addc_co_u32_e32 v10, vcc, 0, v13, vcc
	v_mul_lo_u32 v12, v3, s11
	v_mul_lo_u32 v13, v10, s10
	v_mad_u64_u32 v[10:11], s[0:1], v3, s10, v[8:9]
	v_add_co_u32_e32 v9, vcc, v16, v14
	v_add3_u32 v3, v13, v11, v12
	v_add_u32_e32 v8, s51, v8
	v_addc_co_u32_e32 v12, vcc, 0, v17, vcc
	v_min_i32_e32 v11, s20, v8
	v_mul_lo_u32 v8, v9, s13
	v_mul_lo_u32 v14, v12, s12
	v_mad_u64_u32 v[12:13], s[0:1], v9, s12, v[6:7]
	v_add3_u32 v13, v14, v13, v8
	v_mul_lo_u32 v3, v3, s22
	v_mad_u64_u32 v[8:9], s[0:1], v10, s22, v[12:13]
	v_mul_lo_u32 v7, v10, s23
	v_add3_u32 v9, v3, v9, v7
	v_cmp_gt_i32_e32 vcc, v11, v10
	v_mov_b32_e32 v16, 0xff800000
	s_and_saveexec_b64 s[34:35], vcc
	s_cbranch_execz .LBB7_3
; %bb.21:                               ;   in Loop: Header=BB7_4 Depth=1
	v_add_u32_e32 v3, s52, v6
	v_pk_mov_b32 v[6:7], s[18:19], s[18:19] op_sel:[0,1]
	v_min_i32_e32 v17, s22, v3
	v_mad_u64_u32 v[6:7], s[0:1], s14, v4, v[6:7]
	v_mul_lo_u32 v5, s14, v5
	v_mul_lo_u32 v4, s15, v4
	v_ashrrev_i32_e32 v3, 31, v10
	v_cmp_gt_i32_e32 vcc, v17, v12
	v_add3_u32 v7, v4, v7, v5
	s_mov_b64 s[36:37], 0
	v_mov_b32_e32 v16, 0xff800000
	s_branch .LBB7_23
.LBB7_22:                               ;   in Loop: Header=BB7_23 Depth=2
	s_or_b64 exec, exec, s[38:39]
	v_add_u32_e32 v10, s6, v10
	v_cmp_ge_i32_e64 s[0:1], v10, v11
	s_or_b64 s[36:37], s[0:1], s[36:37]
	v_ashrrev_i32_e32 v3, 31, v10
	s_andn2_b64 exec, exec, s[36:37]
	s_cbranch_execz .LBB7_2
.LBB7_23:                               ;   Parent Loop BB7_4 Depth=1
                                        ; =>  This Loop Header: Depth=2
                                        ;       Child Loop BB7_25 Depth 3
	s_and_saveexec_b64 s[38:39], vcc
	s_cbranch_execz .LBB7_22
; %bb.24:                               ;   in Loop: Header=BB7_23 Depth=2
	v_ashrrev_i32_e32 v13, 31, v12
	v_mul_lo_u32 v14, v10, s23
	v_mul_lo_u32 v3, v3, s22
	v_mad_u64_u32 v[4:5], s[0:1], v10, s22, v[12:13]
	v_add3_u32 v5, v3, v5, v14
	v_lshlrev_b64 v[14:15], 2, v[4:5]
	v_add_co_u32_e64 v14, s[0:1], v6, v14
	v_addc_co_u32_e64 v15, s[0:1], v7, v15, s[0:1]
	s_mov_b64 s[40:41], 0
	v_mov_b32_e32 v3, v12
.LBB7_25:                               ;   Parent Loop BB7_4 Depth=1
                                        ;     Parent Loop BB7_23 Depth=2
                                        ; =>    This Inner Loop Header: Depth=3
	global_load_dword v13, v[14:15], off
	v_mov_b32_e32 v20, s29
	v_add_co_u32_e64 v14, s[0:1], s28, v14
	v_add_u32_e32 v3, s7, v3
	v_addc_co_u32_e64 v15, s[0:1], v15, v20, s[0:1]
	v_cmp_ge_i32_e64 s[0:1], v3, v17
	v_mov_b32_e32 v19, s13
	s_waitcnt vmcnt(0)
	v_cmp_gt_f32_e64 s[2:3], v13, v16
	v_cmp_u_f32_e64 s[4:5], v13, v13
	s_or_b64 s[2:3], s[2:3], s[4:5]
	v_cndmask_b32_e64 v8, v8, v4, s[2:3]
	s_or_b64 s[40:41], s[0:1], s[40:41]
	v_add_co_u32_e64 v4, s[0:1], s12, v4
	v_cndmask_b32_e64 v16, v16, v13, s[2:3]
	v_cndmask_b32_e64 v9, v9, v5, s[2:3]
	v_addc_co_u32_e64 v5, s[0:1], v5, v19, s[0:1]
	s_andn2_b64 exec, exec, s[40:41]
	s_cbranch_execnz .LBB7_25
; %bb.26:                               ;   in Loop: Header=BB7_23 Depth=2
	s_or_b64 exec, exec, s[40:41]
	s_branch .LBB7_22
.LBB7_27:
	s_endpgm
	.section	.rodata,"a",@progbits
	.p2align	6, 0x0
	.amdhsa_kernel _ZN2at6native12_GLOBAL__N_121max_pool_forward_nchwIflEEvT0_PKT_llliiiiiiiiiiPS4_Pl
		.amdhsa_group_segment_fixed_size 0
		.amdhsa_private_segment_fixed_size 0
		.amdhsa_kernarg_size 352
		.amdhsa_user_sgpr_count 6
		.amdhsa_user_sgpr_private_segment_buffer 1
		.amdhsa_user_sgpr_dispatch_ptr 0
		.amdhsa_user_sgpr_queue_ptr 0
		.amdhsa_user_sgpr_kernarg_segment_ptr 1
		.amdhsa_user_sgpr_dispatch_id 0
		.amdhsa_user_sgpr_flat_scratch_init 0
		.amdhsa_user_sgpr_kernarg_preload_length 0
		.amdhsa_user_sgpr_kernarg_preload_offset 0
		.amdhsa_user_sgpr_private_segment_size 0
		.amdhsa_uses_dynamic_stack 0
		.amdhsa_system_sgpr_private_segment_wavefront_offset 0
		.amdhsa_system_sgpr_workgroup_id_x 1
		.amdhsa_system_sgpr_workgroup_id_y 0
		.amdhsa_system_sgpr_workgroup_id_z 0
		.amdhsa_system_sgpr_workgroup_info 0
		.amdhsa_system_vgpr_workitem_id 0
		.amdhsa_next_free_vgpr 25
		.amdhsa_next_free_sgpr 59
		.amdhsa_accum_offset 28
		.amdhsa_reserve_vcc 1
		.amdhsa_reserve_flat_scratch 0
		.amdhsa_float_round_mode_32 0
		.amdhsa_float_round_mode_16_64 0
		.amdhsa_float_denorm_mode_32 3
		.amdhsa_float_denorm_mode_16_64 3
		.amdhsa_dx10_clamp 1
		.amdhsa_ieee_mode 1
		.amdhsa_fp16_overflow 0
		.amdhsa_tg_split 0
		.amdhsa_exception_fp_ieee_invalid_op 0
		.amdhsa_exception_fp_denorm_src 0
		.amdhsa_exception_fp_ieee_div_zero 0
		.amdhsa_exception_fp_ieee_overflow 0
		.amdhsa_exception_fp_ieee_underflow 0
		.amdhsa_exception_fp_ieee_inexact 0
		.amdhsa_exception_int_div_zero 0
	.end_amdhsa_kernel
	.section	.text._ZN2at6native12_GLOBAL__N_121max_pool_forward_nchwIflEEvT0_PKT_llliiiiiiiiiiPS4_Pl,"axG",@progbits,_ZN2at6native12_GLOBAL__N_121max_pool_forward_nchwIflEEvT0_PKT_llliiiiiiiiiiPS4_Pl,comdat
.Lfunc_end7:
	.size	_ZN2at6native12_GLOBAL__N_121max_pool_forward_nchwIflEEvT0_PKT_llliiiiiiiiiiPS4_Pl, .Lfunc_end7-_ZN2at6native12_GLOBAL__N_121max_pool_forward_nchwIflEEvT0_PKT_llliiiiiiiiiiPS4_Pl
                                        ; -- End function
	.section	.AMDGPU.csdata,"",@progbits
; Kernel info:
; codeLenInByte = 4204
; NumSgprs: 63
; NumVgprs: 25
; NumAgprs: 0
; TotalNumVgprs: 25
; ScratchSize: 0
; MemoryBound: 0
; FloatMode: 240
; IeeeMode: 1
; LDSByteSize: 0 bytes/workgroup (compile time only)
; SGPRBlocks: 7
; VGPRBlocks: 3
; NumSGPRsForWavesPerEU: 63
; NumVGPRsForWavesPerEU: 25
; AccumOffset: 28
; Occupancy: 8
; WaveLimiterHint : 0
; COMPUTE_PGM_RSRC2:SCRATCH_EN: 0
; COMPUTE_PGM_RSRC2:USER_SGPR: 6
; COMPUTE_PGM_RSRC2:TRAP_HANDLER: 0
; COMPUTE_PGM_RSRC2:TGID_X_EN: 1
; COMPUTE_PGM_RSRC2:TGID_Y_EN: 0
; COMPUTE_PGM_RSRC2:TGID_Z_EN: 0
; COMPUTE_PGM_RSRC2:TIDIG_COMP_CNT: 0
; COMPUTE_PGM_RSRC3_GFX90A:ACCUM_OFFSET: 6
; COMPUTE_PGM_RSRC3_GFX90A:TG_SPLIT: 0
	.section	.text._ZN2at6native12_GLOBAL__N_121max_pool_forward_nhwcIN3c104HalfEiEEvPKT_iT0_S8_S8_S8_S8_iiiiiiiiS8_S8_S8_S8_iiPS5_Pl,"axG",@progbits,_ZN2at6native12_GLOBAL__N_121max_pool_forward_nhwcIN3c104HalfEiEEvPKT_iT0_S8_S8_S8_S8_iiiiiiiiS8_S8_S8_S8_iiPS5_Pl,comdat
	.globl	_ZN2at6native12_GLOBAL__N_121max_pool_forward_nhwcIN3c104HalfEiEEvPKT_iT0_S8_S8_S8_S8_iiiiiiiiS8_S8_S8_S8_iiPS5_Pl ; -- Begin function _ZN2at6native12_GLOBAL__N_121max_pool_forward_nhwcIN3c104HalfEiEEvPKT_iT0_S8_S8_S8_S8_iiiiiiiiS8_S8_S8_S8_iiPS5_Pl
	.p2align	8
	.type	_ZN2at6native12_GLOBAL__N_121max_pool_forward_nhwcIN3c104HalfEiEEvPKT_iT0_S8_S8_S8_S8_iiiiiiiiS8_S8_S8_S8_iiPS5_Pl,@function
_ZN2at6native12_GLOBAL__N_121max_pool_forward_nhwcIN3c104HalfEiEEvPKT_iT0_S8_S8_S8_S8_iiiiiiiiS8_S8_S8_S8_iiPS5_Pl: ; @_ZN2at6native12_GLOBAL__N_121max_pool_forward_nhwcIN3c104HalfEiEEvPKT_iT0_S8_S8_S8_S8_iiiiiiiiS8_S8_S8_S8_iiPS5_Pl
; %bb.0:
	s_load_dwordx4 s[0:3], s[4:5], 0x6c
	s_load_dwordx4 s[36:39], s[4:5], 0x48
	v_bfe_u32 v2, v0, 10, 10
	v_bfe_u32 v3, v0, 20, 10
	v_and_b32_e32 v6, 0x3ff, v0
	s_waitcnt lgkmcnt(0)
	s_and_b32 s15, s2, 0xffff
	s_lshr_b32 s56, s2, 16
	s_mul_i32 s14, s15, s39
	s_and_b32 s33, s3, 0xffff
	s_mul_i32 s9, s14, s56
	v_mad_u32_u24 v7, v3, s56, v2
	s_mul_i32 s9, s9, s33
	v_mad_u64_u32 v[0:1], s[2:3], v7, s15, v[6:7]
	v_cmp_gt_u32_e32 vcc, s9, v0
	s_and_saveexec_b64 s[2:3], vcc
	s_cbranch_execz .LBB8_3
; %bb.1:
	s_mul_i32 s12, s56, s15
	s_lshl_b32 s10, s9, 2
	s_mul_i32 s12, s12, s33
	s_add_i32 s10, s10, 0
	v_lshl_add_u32 v1, v0, 1, s10
	s_lshl_b32 s13, s12, 1
	v_lshl_add_u32 v4, v0, 2, 0
	s_lshl_b32 s16, s12, 2
	s_mov_b64 s[10:11], 0
	v_mov_b32_e32 v5, 0xfffffc00
	v_mov_b32_e32 v8, 0
.LBB8_2:                                ; =>This Inner Loop Header: Depth=1
	v_add_u32_e32 v0, s12, v0
	v_cmp_le_u32_e32 vcc, s9, v0
	ds_write_b16 v1, v5
	ds_write_b32 v4, v8
	v_add_u32_e32 v1, s13, v1
	s_or_b64 s[10:11], vcc, s[10:11]
	v_add_u32_e32 v4, s16, v4
	s_andn2_b64 exec, exec, s[10:11]
	s_cbranch_execnz .LBB8_2
.LBB8_3:
	s_or_b64 exec, exec, s[2:3]
	v_cvt_f32_u32_e32 v0, s1
	s_load_dwordx16 s[16:31], s[4:5], 0x8
	s_sub_i32 s2, 0, s1
	s_waitcnt lgkmcnt(0)
	v_rcp_iflag_f32_e32 v0, v0
	s_barrier
	s_add_i32 s3, s20, s1
	s_add_i32 s3, s3, -1
	v_mul_f32_e32 v0, 0x4f7ffffe, v0
	v_cvt_u32_f32_e32 v0, v0
	v_cvt_f32_u32_e32 v1, s16
	v_readfirstlane_b32 s10, v0
	s_mul_i32 s2, s2, s10
	s_mul_hi_u32 s11, s10, s2
	v_cvt_f32_u32_e32 v0, s0
	s_add_i32 s10, s10, s11
	s_mul_hi_u32 s10, s3, s10
	s_mul_i32 s11, s10, s1
	s_sub_i32 s3, s3, s11
	v_rcp_iflag_f32_e32 v0, v0
	s_add_i32 s11, s10, 1
	s_sub_i32 s12, s3, s1
	v_rcp_iflag_f32_e32 v1, v1
	s_cmp_ge_u32 s3, s1
	s_cselect_b32 s10, s11, s10
	s_cselect_b32 s3, s12, s3
	v_mul_f32_e32 v0, 0x4f7ffffe, v0
	s_add_i32 s11, s10, 1
	v_cvt_u32_f32_e32 v0, v0
	s_cmp_ge_u32 s3, s1
	v_mul_f32_e32 v1, 0x4f7ffffe, v1
	s_cselect_b32 s3, s11, s10
	v_cvt_u32_f32_e32 v1, v1
	s_mul_i32 s8, s3, s8
	v_add_u32_e32 v3, s8, v3
	v_readfirstlane_b32 s1, v0
	v_add_u32_e32 v0, s3, v3
	v_min_i32_e32 v16, s20, v0
	v_readfirstlane_b32 s2, v1
	v_cmp_lt_i32_e32 vcc, v3, v16
	s_and_saveexec_b64 s[10:11], vcc
	s_cbranch_execz .LBB8_74
; %bb.4:
	s_sub_i32 s3, 0, s16
	s_mul_i32 s3, s3, s2
	s_mul_hi_u32 s3, s2, s3
	s_add_i32 s2, s2, s3
	s_add_i32 s3, s21, s0
	s_add_i32 s40, s3, -1
	s_sub_i32 s3, 0, s0
	s_mul_i32 s3, s3, s1
	s_mul_hi_u32 s3, s1, s3
	s_mul_hi_u32 s2, s6, s2
	s_add_i32 s1, s1, s3
	s_lshl_b32 s3, s9, 2
	s_add_i32 s41, s3, 0
	s_mul_i32 s3, s2, s16
	s_sub_i32 s3, s6, s3
	s_add_i32 s8, s2, 1
	s_sub_i32 s9, s3, s16
	s_cmp_ge_u32 s3, s16
	s_cselect_b32 s2, s8, s2
	s_cselect_b32 s3, s9, s3
	s_add_i32 s8, s2, 1
	s_cmp_ge_u32 s3, s16
	s_cselect_b32 s2, s8, s2
	s_mul_i32 s3, s2, s16
	s_mul_i32 s2, s2, s15
	v_add_u32_e32 v0, s2, v6
	s_mul_i32 s2, s20, s17
	s_sub_i32 s6, s6, s3
	s_mul_i32 s2, s2, s21
	s_mul_i32 s12, s2, s6
	s_load_dwordx2 s[2:3], s[4:5], 0x0
	s_mul_i32 s8, s6, s30
	s_ashr_i32 s9, s8, 31
	s_mul_hi_u32 s1, s40, s1
	s_ashr_i32 s13, s12, 31
	s_lshl_b64 s[34:35], s[8:9], 1
	s_load_dwordx4 s[8:11], s[4:5], 0x58
	s_waitcnt lgkmcnt(0)
	s_add_u32 s16, s2, s34
	s_mul_i32 s2, s1, s0
	s_addc_u32 s57, s3, s35
	s_sub_i32 s2, s40, s2
	s_add_i32 s3, s1, 1
	s_sub_i32 s4, s2, s0
	s_cmp_ge_u32 s2, s0
	s_cselect_b32 s1, s3, s1
	s_cselect_b32 s2, s4, s2
	s_add_i32 s3, s1, 1
	s_cmp_ge_u32 s2, s0
	s_cselect_b32 s0, s3, s1
	s_mul_i32 s1, s0, s7
	v_add_u32_e32 v2, s1, v2
	v_add_u32_e32 v4, s0, v2
	s_add_i32 s0, s22, -1
	s_add_i32 s2, s23, -1
	s_mul_i32 s58, s0, s28
	s_mul_i32 s59, s2, s29
	s_add_i32 s58, s58, 1
	s_add_i32 s59, s59, 1
	s_max_i32 s2, s22, s23
	v_mul_lo_u32 v1, s14, v7
	s_cmp_lt_i32 s2, 4
	s_mul_i32 s14, s15, s38
	s_cselect_b64 s[2:3], -1, 0
	s_cmp_ge_u32 s14, s17
	s_cselect_b64 s[4:5], -1, 0
	s_max_u32 s60, s28, 1
	v_cvt_f32_u32_e32 v12, s60
	v_min_i32_e32 v17, s21, v4
	v_mul_lo_u32 v4, v0, s31
	v_ashrrev_i32_e32 v5, 31, v4
	v_lshlrev_b64 v[8:9], 1, v[4:5]
	v_add_co_u32_e32 v5, vcc, s16, v8
	v_rcp_iflag_f32_e32 v8, v12
	v_mov_b32_e32 v11, s57
	v_lshlrev_b32_e32 v10, 1, v1
	v_lshlrev_b32_e32 v1, 2, v1
	v_mul_f32_e32 v8, 0x4f7ffffe, v8
	v_cvt_u32_f32_e32 v8, v8
	s_and_b64 s[22:23], s[2:3], s[4:5]
	v_addc_co_u32_e32 v18, vcc, v11, v9, vcc
	v_lshlrev_b32_e32 v9, 1, v6
	v_lshlrev_b32_e32 v6, 2, v6
	s_sub_i32 s4, 0, s60
	v_add3_u32 v20, 0, v1, v6
	v_mul_lo_u32 v1, s4, v8
	v_mul_hi_u32 v1, v8, v1
	v_add_u32_e32 v21, v8, v1
	s_mul_i32 s4, s56, s33
	v_lshlrev_b32_e32 v1, 1, v7
	v_lshl_add_u32 v1, s4, 2, v1
	v_mul_lo_u32 v1, s39, v1
	v_mul_lo_u32 v1, v1, s15
	v_add3_u32 v23, v1, v9, 0
	v_mul_lo_u32 v1, s39, v7
	v_mul_lo_u32 v1, v1, s15
	s_lshl_b32 s61, s29, 1
	s_lshl_b32 s63, s15, 1
	v_lshlrev_b32_e32 v1, 2, v1
	s_lshl_b32 s64, s15, 2
	s_lshl_b64 s[4:5], s[12:13], 1
	v_add3_u32 v24, v1, v6, 0
	v_ashrrev_i32_e32 v1, 31, v0
	s_add_u32 s4, s8, s4
	v_lshlrev_b64 v[6:7], 1, v[0:1]
	s_addc_u32 s5, s9, s5
	s_mul_i32 s62, s38, s31
	v_mov_b32_e32 v8, s5
	v_add_co_u32_e32 v25, vcc, s4, v6
	s_mul_i32 s62, s62, s15
	v_addc_co_u32_e32 v26, vcc, v8, v7, vcc
	v_mad_u64_u32 v[6:7], s[4:5], s21, v3, v[2:3]
	s_ashr_i32 s15, s14, 31
	s_mul_i32 s65, s21, s17
	s_lshl_b64 s[20:21], s[14:15], 1
	s_lshl_b64 s[4:5], s[12:13], 3
	s_add_u32 s4, s10, s4
	v_mul_lo_u32 v27, s17, v6
	v_lshlrev_b64 v[6:7], 3, v[0:1]
	s_addc_u32 s5, s11, s5
	v_mov_b32_e32 v8, s5
	v_add_co_u32_e32 v1, vcc, s4, v6
	v_cmp_lt_i32_e64 s[0:1], v2, v17
	v_cmp_gt_i32_e64 s[2:3], s17, v0
	v_add3_u32 v19, s41, v10, v9
	v_mov_b32_e32 v22, 0
	s_mul_i32 s65, s65, s33
	s_mul_i32 s66, s17, s56
	v_addc_co_u32_e32 v28, vcc, v8, v7, vcc
	s_lshl_b64 s[30:31], s[14:15], 3
	s_mov_b64 s[34:35], 0
	v_mov_b32_e32 v29, 0xfffffc00
	s_branch .LBB8_6
.LBB8_5:                                ;   in Loop: Header=BB8_6 Depth=1
	s_or_b64 exec, exec, s[38:39]
	v_add_u32_e32 v3, s33, v3
	v_cmp_ge_i32_e32 vcc, v3, v16
	s_or_b64 s[34:35], vcc, s[34:35]
	v_add_u32_e32 v27, s65, v27
	s_andn2_b64 exec, exec, s[34:35]
	s_cbranch_execz .LBB8_74
.LBB8_6:                                ; =>This Loop Header: Depth=1
                                        ;     Child Loop BB8_9 Depth 2
                                        ;       Child Loop BB8_10 Depth 3
                                        ;       Child Loop BB8_63 Depth 3
                                        ;         Child Loop BB8_66 Depth 4
                                        ;           Child Loop BB8_69 Depth 5
                                        ;       Child Loop BB8_73 Depth 3
	s_and_saveexec_b64 s[38:39], s[0:1]
	s_cbranch_execz .LBB8_5
; %bb.7:                                ;   in Loop: Header=BB8_6 Depth=1
	v_mul_lo_u32 v6, v3, s24
	v_subrev_u32_e32 v6, s26, v6
	v_add_u32_e32 v7, s58, v6
	v_min_i32_e32 v30, s18, v7
	s_mov_b64 s[40:41], 0
	v_mov_b32_e32 v8, v27
	v_mov_b32_e32 v31, v2
	s_branch .LBB8_9
.LBB8_8:                                ;   in Loop: Header=BB8_9 Depth=2
	s_or_b64 exec, exec, s[4:5]
	v_add_u32_e32 v31, s56, v31
	v_cmp_ge_i32_e32 vcc, v31, v17
	s_or_b64 s[40:41], vcc, s[40:41]
	v_add_u32_e32 v8, s66, v8
	s_andn2_b64 exec, exec, s[40:41]
	s_cbranch_execz .LBB8_5
.LBB8_9:                                ;   Parent Loop BB8_6 Depth=1
                                        ; =>  This Loop Header: Depth=2
                                        ;       Child Loop BB8_10 Depth 3
                                        ;       Child Loop BB8_63 Depth 3
                                        ;         Child Loop BB8_66 Depth 4
                                        ;           Child Loop BB8_69 Depth 5
                                        ;       Child Loop BB8_73 Depth 3
	v_mul_lo_u32 v7, v31, s25
	v_subrev_u32_e32 v7, s27, v7
	s_mov_b64 s[4:5], 0
	v_mov_b32_e32 v33, v7
.LBB8_10:                               ;   Parent Loop BB8_6 Depth=1
                                        ;     Parent Loop BB8_9 Depth=2
                                        ; =>    This Inner Loop Header: Depth=3
	v_mov_b32_e32 v9, v33
	v_cmp_lt_i32_e32 vcc, -1, v9
	s_or_b64 s[4:5], vcc, s[4:5]
	v_add_u32_e32 v33, s29, v9
	s_andn2_b64 exec, exec, s[4:5]
	s_cbranch_execnz .LBB8_10
; %bb.11:                               ;   in Loop: Header=BB8_9 Depth=2
	s_or_b64 exec, exec, s[4:5]
	v_lshrrev_b32_e32 v11, 31, v6
	s_waitcnt vmcnt(0)
	v_max_i32_e32 v10, 0, v6
	v_add_u32_e32 v12, v6, v11
	v_sub_u32_e32 v10, v10, v12
	v_mul_hi_u32 v12, v10, v21
	v_mul_lo_u32 v13, v12, s60
	v_sub_u32_e32 v10, v10, v13
	v_add_u32_e32 v13, 1, v12
	v_cmp_le_u32_e32 vcc, s60, v10
	v_cndmask_b32_e32 v12, v12, v13, vcc
	v_subrev_u32_e32 v13, s60, v10
	v_cndmask_b32_e32 v10, v10, v13, vcc
	v_add_u32_e32 v13, 1, v12
	v_cmp_le_u32_e32 vcc, s60, v10
	v_cndmask_b32_e32 v10, v12, v13, vcc
	v_add_u32_e32 v7, s59, v7
	v_add_u32_e32 v10, v11, v10
	v_min_i32_e32 v32, s19, v7
	v_mad_u64_u32 v[6:7], s[4:5], v10, s28, v[6:7]
	v_cmp_lt_i32_e64 s[4:5], v6, v30
	s_mov_b64 s[6:7], -1
	s_and_b64 vcc, exec, s[22:23]
	s_cbranch_vccnz .LBB8_14
; %bb.12:                               ;   in Loop: Header=BB8_9 Depth=2
	s_and_b64 vcc, exec, s[6:7]
	s_cbranch_vccnz .LBB8_60
.LBB8_13:                               ;   in Loop: Header=BB8_9 Depth=2
	s_and_saveexec_b64 s[4:5], s[2:3]
	s_cbranch_execz .LBB8_8
	s_branch .LBB8_72
.LBB8_14:                               ;   in Loop: Header=BB8_9 Depth=2
	v_mul_lo_u32 v10, v6, s36
	v_ashrrev_i32_e32 v11, 31, v10
	v_lshlrev_b64 v[10:11], 1, v[10:11]
	v_add_co_u32_e32 v36, vcc, v5, v10
	v_addc_co_u32_e32 v38, vcc, v18, v11, vcc
	v_cmp_lt_i32_e32 vcc, v9, v32
	s_and_b64 s[6:7], s[4:5], vcc
	v_mul_lo_u32 v10, v9, s37
	s_and_b64 s[42:43], s[2:3], s[6:7]
	v_mov_b32_e32 v34, 0
	v_ashrrev_i32_e32 v11, 31, v10
	v_mov_b32_e32 v37, 0
	s_and_saveexec_b64 s[8:9], s[42:43]
	s_cbranch_execz .LBB8_16
; %bb.15:                               ;   in Loop: Header=BB8_9 Depth=2
	v_lshlrev_b64 v[12:13], 1, v[10:11]
	v_add_co_u32_e64 v12, s[6:7], v36, v12
	v_addc_co_u32_e64 v13, s[6:7], v38, v13, s[6:7]
	global_load_ushort v37, v[12:13], off
.LBB8_16:                               ;   in Loop: Header=BB8_9 Depth=2
	s_or_b64 exec, exec, s[8:9]
	v_cmp_lt_i32_e64 s[6:7], v33, v32
	s_and_b64 s[8:9], s[4:5], s[6:7]
	v_mul_lo_u32 v12, v33, s37
	s_and_b64 s[44:45], s[2:3], s[8:9]
	v_ashrrev_i32_e32 v13, 31, v12
	s_and_saveexec_b64 s[10:11], s[44:45]
	s_cbranch_execz .LBB8_18
; %bb.17:                               ;   in Loop: Header=BB8_9 Depth=2
	v_lshlrev_b64 v[14:15], 1, v[12:13]
	v_add_co_u32_e64 v14, s[8:9], v36, v14
	v_addc_co_u32_e64 v15, s[8:9], v38, v15, s[8:9]
	global_load_ushort v34, v[14:15], off
.LBB8_18:                               ;   in Loop: Header=BB8_9 Depth=2
	s_or_b64 exec, exec, s[10:11]
	v_add_u32_e32 v7, s61, v9
	v_cmp_lt_i32_e64 s[8:9], v7, v32
	s_and_b64 s[10:11], s[4:5], s[8:9]
	v_mul_lo_u32 v14, v7, s37
	s_and_b64 s[46:47], s[2:3], s[10:11]
	v_mov_b32_e32 v35, 0
	v_ashrrev_i32_e32 v15, 31, v14
	v_mov_b32_e32 v39, 0
	s_and_saveexec_b64 s[12:13], s[46:47]
	s_cbranch_execz .LBB8_20
; %bb.19:                               ;   in Loop: Header=BB8_9 Depth=2
	v_lshlrev_b64 v[40:41], 1, v[14:15]
	v_add_co_u32_e64 v40, s[10:11], v36, v40
	v_addc_co_u32_e64 v41, s[10:11], v38, v41, s[10:11]
	global_load_ushort v39, v[40:41], off
.LBB8_20:                               ;   in Loop: Header=BB8_9 Depth=2
	s_or_b64 exec, exec, s[12:13]
	v_add_u32_e32 v40, s28, v6
	v_mul_lo_u32 v42, v40, s36
	v_ashrrev_i32_e32 v43, 31, v42
	v_lshlrev_b64 v[42:43], 1, v[42:43]
	v_add_co_u32_e64 v38, s[12:13], v5, v42
	v_cmp_lt_i32_e64 s[10:11], v40, v30
	v_addc_co_u32_e64 v42, s[12:13], v18, v43, s[12:13]
	s_and_b64 s[12:13], s[10:11], vcc
	s_and_b64 s[48:49], s[2:3], s[12:13]
	s_and_saveexec_b64 s[50:51], s[48:49]
	s_cbranch_execz .LBB8_22
; %bb.21:                               ;   in Loop: Header=BB8_9 Depth=2
	v_lshlrev_b64 v[44:45], 1, v[10:11]
	v_add_co_u32_e64 v44, s[12:13], v38, v44
	v_addc_co_u32_e64 v45, s[12:13], v42, v45, s[12:13]
	global_load_ushort v35, v[44:45], off
.LBB8_22:                               ;   in Loop: Header=BB8_9 Depth=2
	s_or_b64 exec, exec, s[50:51]
	s_and_b64 s[12:13], s[10:11], s[6:7]
	s_and_b64 s[50:51], s[2:3], s[12:13]
	v_mov_b32_e32 v36, 0
	v_mov_b32_e32 v41, 0
	s_and_saveexec_b64 s[52:53], s[50:51]
	s_cbranch_execz .LBB8_24
; %bb.23:                               ;   in Loop: Header=BB8_9 Depth=2
	v_lshlrev_b64 v[44:45], 1, v[12:13]
	v_add_co_u32_e64 v44, s[12:13], v38, v44
	v_addc_co_u32_e64 v45, s[12:13], v42, v45, s[12:13]
	global_load_ushort v41, v[44:45], off
.LBB8_24:                               ;   in Loop: Header=BB8_9 Depth=2
	s_or_b64 exec, exec, s[52:53]
	s_and_b64 s[10:11], s[10:11], s[8:9]
	s_and_b64 s[52:53], s[2:3], s[10:11]
	s_and_saveexec_b64 s[12:13], s[52:53]
	s_cbranch_execz .LBB8_26
; %bb.25:                               ;   in Loop: Header=BB8_9 Depth=2
	v_lshlrev_b64 v[44:45], 1, v[14:15]
	v_add_co_u32_e64 v44, s[10:11], v38, v44
	v_addc_co_u32_e64 v45, s[10:11], v42, v45, s[10:11]
	global_load_ushort v36, v[44:45], off
.LBB8_26:                               ;   in Loop: Header=BB8_9 Depth=2
	s_or_b64 exec, exec, s[12:13]
	v_add_u32_e32 v42, s28, v40
	v_mul_lo_u32 v44, v42, s36
	v_ashrrev_i32_e32 v45, 31, v44
	v_lshlrev_b64 v[44:45], 1, v[44:45]
	v_add_co_u32_e64 v44, s[12:13], v5, v44
	v_cmp_lt_i32_e64 s[10:11], v42, v30
	v_addc_co_u32_e64 v45, s[12:13], v18, v45, s[12:13]
	s_and_b64 s[12:13], s[10:11], vcc
	s_and_b64 s[12:13], s[2:3], s[12:13]
	v_mov_b32_e32 v38, 0
	v_mov_b32_e32 v43, 0
	s_and_saveexec_b64 s[54:55], s[12:13]
	s_cbranch_execz .LBB8_28
; %bb.27:                               ;   in Loop: Header=BB8_9 Depth=2
	v_lshlrev_b64 v[10:11], 1, v[10:11]
	v_add_co_u32_e32 v10, vcc, v44, v10
	v_addc_co_u32_e32 v11, vcc, v45, v11, vcc
	global_load_ushort v43, v[10:11], off
.LBB8_28:                               ;   in Loop: Header=BB8_9 Depth=2
	s_or_b64 exec, exec, s[54:55]
	s_and_b64 s[6:7], s[10:11], s[6:7]
	s_and_b64 s[54:55], s[2:3], s[6:7]
	s_and_saveexec_b64 s[6:7], s[54:55]
	s_cbranch_execz .LBB8_30
; %bb.29:                               ;   in Loop: Header=BB8_9 Depth=2
	v_lshlrev_b64 v[10:11], 1, v[12:13]
	v_add_co_u32_e32 v10, vcc, v44, v10
	v_addc_co_u32_e32 v11, vcc, v45, v11, vcc
	global_load_ushort v38, v[10:11], off
.LBB8_30:                               ;   in Loop: Header=BB8_9 Depth=2
	s_or_b64 exec, exec, s[6:7]
	s_and_b64 s[6:7], s[10:11], s[8:9]
	s_and_b64 s[8:9], s[2:3], s[6:7]
	v_mov_b32_e32 v10, 0
	s_and_saveexec_b64 s[6:7], s[8:9]
	s_cbranch_execz .LBB8_32
; %bb.31:                               ;   in Loop: Header=BB8_9 Depth=2
	v_lshlrev_b64 v[10:11], 1, v[14:15]
	v_add_co_u32_e32 v10, vcc, v44, v10
	v_addc_co_u32_e32 v11, vcc, v45, v11, vcc
	global_load_ushort v10, v[10:11], off
.LBB8_32:                               ;   in Loop: Header=BB8_9 Depth=2
	s_or_b64 exec, exec, s[6:7]
	v_mul_lo_u32 v11, v6, s19
	s_and_saveexec_b64 s[10:11], s[42:43]
	s_cbranch_execz .LBB8_35
; %bb.33:                               ;   in Loop: Header=BB8_9 Depth=2
	ds_read_u16 v12, v19
	s_waitcnt vmcnt(0)
	v_cmp_u_f16_e64 s[6:7], v37, v37
	s_waitcnt lgkmcnt(0)
	v_cmp_lt_f16_e32 vcc, v12, v37
	s_or_b64 s[6:7], vcc, s[6:7]
	s_and_b64 exec, exec, s[6:7]
	s_cbranch_execz .LBB8_35
; %bb.34:                               ;   in Loop: Header=BB8_9 Depth=2
	v_add_u32_e32 v12, v9, v11
	ds_write_b16 v19, v37
	ds_write_b32 v20, v12
.LBB8_35:                               ;   in Loop: Header=BB8_9 Depth=2
	s_or_b64 exec, exec, s[10:11]
	s_and_saveexec_b64 s[10:11], s[44:45]
	s_cbranch_execz .LBB8_38
; %bb.36:                               ;   in Loop: Header=BB8_9 Depth=2
	ds_read_u16 v12, v19
	s_waitcnt vmcnt(0)
	v_cmp_u_f16_e64 s[6:7], v34, v34
	s_waitcnt lgkmcnt(0)
	v_cmp_lt_f16_e32 vcc, v12, v34
	s_or_b64 s[6:7], vcc, s[6:7]
	s_and_b64 exec, exec, s[6:7]
	s_cbranch_execz .LBB8_38
; %bb.37:                               ;   in Loop: Header=BB8_9 Depth=2
	v_add_u32_e32 v12, v33, v11
	ds_write_b16 v19, v34
	ds_write_b32 v20, v12
.LBB8_38:                               ;   in Loop: Header=BB8_9 Depth=2
	s_or_b64 exec, exec, s[10:11]
	s_and_saveexec_b64 s[10:11], s[46:47]
	s_cbranch_execz .LBB8_41
; %bb.39:                               ;   in Loop: Header=BB8_9 Depth=2
	ds_read_u16 v12, v19
	s_waitcnt vmcnt(0)
	v_cmp_u_f16_e64 s[6:7], v39, v39
	s_waitcnt lgkmcnt(0)
	v_cmp_lt_f16_e32 vcc, v12, v39
	s_or_b64 s[6:7], vcc, s[6:7]
	s_and_b64 exec, exec, s[6:7]
	s_cbranch_execz .LBB8_41
; %bb.40:                               ;   in Loop: Header=BB8_9 Depth=2
	v_add_u32_e32 v11, v7, v11
	ds_write_b16 v19, v39
	ds_write_b32 v20, v11
.LBB8_41:                               ;   in Loop: Header=BB8_9 Depth=2
	s_or_b64 exec, exec, s[10:11]
	v_mul_lo_u32 v11, v40, s19
	s_and_saveexec_b64 s[10:11], s[48:49]
	s_cbranch_execz .LBB8_44
; %bb.42:                               ;   in Loop: Header=BB8_9 Depth=2
	ds_read_u16 v12, v19
	s_waitcnt vmcnt(0)
	v_cmp_u_f16_e64 s[6:7], v35, v35
	s_waitcnt lgkmcnt(0)
	v_cmp_lt_f16_e32 vcc, v12, v35
	s_or_b64 s[6:7], vcc, s[6:7]
	s_and_b64 exec, exec, s[6:7]
	s_cbranch_execz .LBB8_44
; %bb.43:                               ;   in Loop: Header=BB8_9 Depth=2
	v_add_u32_e32 v12, v9, v11
	ds_write_b16 v19, v35
	ds_write_b32 v20, v12
.LBB8_44:                               ;   in Loop: Header=BB8_9 Depth=2
	s_or_b64 exec, exec, s[10:11]
	s_and_saveexec_b64 s[10:11], s[50:51]
	s_cbranch_execz .LBB8_47
; %bb.45:                               ;   in Loop: Header=BB8_9 Depth=2
	ds_read_u16 v12, v19
	s_waitcnt vmcnt(0)
	v_cmp_u_f16_e64 s[6:7], v41, v41
	s_waitcnt lgkmcnt(0)
	v_cmp_lt_f16_e32 vcc, v12, v41
	s_or_b64 s[6:7], vcc, s[6:7]
	s_and_b64 exec, exec, s[6:7]
	s_cbranch_execz .LBB8_47
; %bb.46:                               ;   in Loop: Header=BB8_9 Depth=2
	v_add_u32_e32 v12, v33, v11
	ds_write_b16 v19, v41
	ds_write_b32 v20, v12
.LBB8_47:                               ;   in Loop: Header=BB8_9 Depth=2
	s_or_b64 exec, exec, s[10:11]
	s_and_saveexec_b64 s[10:11], s[52:53]
	s_cbranch_execz .LBB8_50
; %bb.48:                               ;   in Loop: Header=BB8_9 Depth=2
	ds_read_u16 v12, v19
	s_waitcnt vmcnt(0)
	v_cmp_u_f16_e64 s[6:7], v36, v36
	s_waitcnt lgkmcnt(0)
	v_cmp_lt_f16_e32 vcc, v12, v36
	s_or_b64 s[6:7], vcc, s[6:7]
	s_and_b64 exec, exec, s[6:7]
	s_cbranch_execz .LBB8_50
; %bb.49:                               ;   in Loop: Header=BB8_9 Depth=2
	v_add_u32_e32 v11, v7, v11
	ds_write_b16 v19, v36
	ds_write_b32 v20, v11
.LBB8_50:                               ;   in Loop: Header=BB8_9 Depth=2
	;; [unrolled: 52-line block ×3, first 2 shown]
	s_or_b64 exec, exec, s[10:11]
	s_branch .LBB8_13
.LBB8_60:                               ;   in Loop: Header=BB8_9 Depth=2
	s_and_saveexec_b64 s[8:9], s[4:5]
	s_cbranch_execz .LBB8_71
; %bb.61:                               ;   in Loop: Header=BB8_9 Depth=2
	v_cmp_lt_i32_e32 vcc, v9, v32
	s_mov_b64 s[10:11], 0
	v_mov_b32_e32 v7, v6
	s_branch .LBB8_63
.LBB8_62:                               ;   in Loop: Header=BB8_63 Depth=3
	s_or_b64 exec, exec, s[12:13]
	v_add_u32_e32 v7, s28, v7
	v_cmp_ge_i32_e64 s[4:5], v7, v30
	s_or_b64 s[10:11], s[4:5], s[10:11]
	s_andn2_b64 exec, exec, s[10:11]
	s_cbranch_execz .LBB8_71
.LBB8_63:                               ;   Parent Loop BB8_6 Depth=1
                                        ;     Parent Loop BB8_9 Depth=2
                                        ; =>    This Loop Header: Depth=3
                                        ;         Child Loop BB8_66 Depth 4
                                        ;           Child Loop BB8_69 Depth 5
	s_and_saveexec_b64 s[12:13], vcc
	s_cbranch_execz .LBB8_62
; %bb.64:                               ;   in Loop: Header=BB8_63 Depth=3
	s_waitcnt vmcnt(0)
	v_mul_lo_u32 v10, v7, s36
	v_ashrrev_i32_e32 v11, 31, v10
	v_lshlrev_b64 v[10:11], 1, v[10:11]
	v_mov_b32_e32 v13, s57
	v_add_co_u32_e64 v12, s[4:5], s16, v10
	v_addc_co_u32_e64 v13, s[4:5], v13, v11, s[4:5]
	v_mul_lo_u32 v14, v7, s19
	s_mov_b64 s[42:43], 0
	v_mov_b32_e32 v15, v9
	s_branch .LBB8_66
.LBB8_65:                               ;   in Loop: Header=BB8_66 Depth=4
	s_or_b64 exec, exec, s[44:45]
	v_add_u32_e32 v15, s29, v15
	v_cmp_ge_i32_e64 s[4:5], v15, v32
	s_or_b64 s[42:43], s[4:5], s[42:43]
	s_andn2_b64 exec, exec, s[42:43]
	s_cbranch_execz .LBB8_62
.LBB8_66:                               ;   Parent Loop BB8_6 Depth=1
                                        ;     Parent Loop BB8_9 Depth=2
                                        ;       Parent Loop BB8_63 Depth=3
                                        ; =>      This Loop Header: Depth=4
                                        ;           Child Loop BB8_69 Depth 5
	s_and_saveexec_b64 s[44:45], s[2:3]
	s_cbranch_execz .LBB8_65
; %bb.67:                               ;   in Loop: Header=BB8_66 Depth=4
	v_mul_lo_u32 v10, v15, s37
	v_ashrrev_i32_e32 v11, 31, v10
	v_lshlrev_b64 v[10:11], 1, v[10:11]
	v_add_co_u32_e64 v33, s[4:5], v12, v10
	v_addc_co_u32_e64 v34, s[4:5], v13, v11, s[4:5]
	v_add_u32_e32 v35, v15, v14
	s_mov_b64 s[46:47], 0
	v_mov_b32_e32 v36, v24
	v_mov_b32_e32 v37, v23
	;; [unrolled: 1-line block ×4, first 2 shown]
	s_branch .LBB8_69
.LBB8_68:                               ;   in Loop: Header=BB8_69 Depth=5
	s_or_b64 exec, exec, s[4:5]
	v_add_u32_e32 v38, s14, v38
	v_cmp_le_i32_e64 s[4:5], s17, v38
	v_add_u32_e32 v10, s62, v10
	v_add_u32_e32 v37, s63, v37
	s_or_b64 s[46:47], s[4:5], s[46:47]
	v_add_u32_e32 v36, s64, v36
	s_andn2_b64 exec, exec, s[46:47]
	s_cbranch_execz .LBB8_65
.LBB8_69:                               ;   Parent Loop BB8_6 Depth=1
                                        ;     Parent Loop BB8_9 Depth=2
                                        ;       Parent Loop BB8_63 Depth=3
                                        ;         Parent Loop BB8_66 Depth=4
                                        ; =>        This Inner Loop Header: Depth=5
	v_ashrrev_i32_e32 v11, 31, v10
	v_lshlrev_b64 v[40:41], 1, v[10:11]
	v_add_co_u32_e64 v40, s[4:5], v33, v40
	v_addc_co_u32_e64 v41, s[4:5], v34, v41, s[4:5]
	global_load_ushort v11, v[40:41], off
	ds_read_u16 v39, v37
	s_waitcnt vmcnt(0) lgkmcnt(0)
	v_cmp_lt_f16_e64 s[4:5], v39, v11
	v_cmp_u_f16_e64 s[6:7], v11, v11
	s_or_b64 s[6:7], s[4:5], s[6:7]
	s_and_saveexec_b64 s[4:5], s[6:7]
	s_cbranch_execz .LBB8_68
; %bb.70:                               ;   in Loop: Header=BB8_69 Depth=5
	ds_write_b16 v37, v11
	ds_write_b32 v36, v35
	s_branch .LBB8_68
.LBB8_71:                               ;   in Loop: Header=BB8_9 Depth=2
	s_or_b64 exec, exec, s[8:9]
	s_and_saveexec_b64 s[4:5], s[2:3]
	s_cbranch_execz .LBB8_8
.LBB8_72:                               ;   in Loop: Header=BB8_9 Depth=2
	v_ashrrev_i32_e32 v9, 31, v8
	s_waitcnt vmcnt(0)
	v_lshlrev_b64 v[10:11], 1, v[8:9]
	v_add_co_u32_e32 v10, vcc, v25, v10
	v_addc_co_u32_e32 v11, vcc, v26, v11, vcc
	v_lshlrev_b64 v[12:13], 3, v[8:9]
	v_add_co_u32_e32 v12, vcc, v1, v12
	v_addc_co_u32_e32 v13, vcc, v28, v13, vcc
	s_mov_b64 s[6:7], 0
	v_mov_b32_e32 v7, v24
	v_mov_b32_e32 v9, v23
	;; [unrolled: 1-line block ×3, first 2 shown]
.LBB8_73:                               ;   Parent Loop BB8_6 Depth=1
                                        ;     Parent Loop BB8_9 Depth=2
                                        ; =>    This Inner Loop Header: Depth=3
	ds_read_u16 v15, v9
	ds_read_b32 v32, v7
	v_add_u32_e32 v14, s14, v14
	v_cmp_le_i32_e32 vcc, s17, v14
	ds_write_b16 v9, v29
	ds_write_b32 v7, v22
	v_mov_b32_e32 v34, s21
	s_or_b64 s[6:7], vcc, s[6:7]
	s_waitcnt lgkmcnt(3)
	global_store_short v[10:11], v15, off
	v_add_co_u32_e32 v10, vcc, s20, v10
	s_waitcnt lgkmcnt(2)
	v_ashrrev_i32_e32 v33, 31, v32
	v_addc_co_u32_e32 v11, vcc, v11, v34, vcc
	v_mov_b32_e32 v35, s31
	global_store_dwordx2 v[12:13], v[32:33], off
	v_add_co_u32_e32 v12, vcc, s30, v12
	v_add_u32_e32 v9, s63, v9
	v_add_u32_e32 v7, s64, v7
	v_addc_co_u32_e32 v13, vcc, v13, v35, vcc
	s_andn2_b64 exec, exec, s[6:7]
	s_cbranch_execnz .LBB8_73
	s_branch .LBB8_8
.LBB8_74:
	s_endpgm
	.section	.rodata,"a",@progbits
	.p2align	6, 0x0
	.amdhsa_kernel _ZN2at6native12_GLOBAL__N_121max_pool_forward_nhwcIN3c104HalfEiEEvPKT_iT0_S8_S8_S8_S8_iiiiiiiiS8_S8_S8_S8_iiPS5_Pl
		.amdhsa_group_segment_fixed_size 0
		.amdhsa_private_segment_fixed_size 0
		.amdhsa_kernarg_size 360
		.amdhsa_user_sgpr_count 6
		.amdhsa_user_sgpr_private_segment_buffer 1
		.amdhsa_user_sgpr_dispatch_ptr 0
		.amdhsa_user_sgpr_queue_ptr 0
		.amdhsa_user_sgpr_kernarg_segment_ptr 1
		.amdhsa_user_sgpr_dispatch_id 0
		.amdhsa_user_sgpr_flat_scratch_init 0
		.amdhsa_user_sgpr_kernarg_preload_length 0
		.amdhsa_user_sgpr_kernarg_preload_offset 0
		.amdhsa_user_sgpr_private_segment_size 0
		.amdhsa_uses_dynamic_stack 0
		.amdhsa_system_sgpr_private_segment_wavefront_offset 0
		.amdhsa_system_sgpr_workgroup_id_x 1
		.amdhsa_system_sgpr_workgroup_id_y 1
		.amdhsa_system_sgpr_workgroup_id_z 1
		.amdhsa_system_sgpr_workgroup_info 0
		.amdhsa_system_vgpr_workitem_id 2
		.amdhsa_next_free_vgpr 46
		.amdhsa_next_free_sgpr 67
		.amdhsa_accum_offset 48
		.amdhsa_reserve_vcc 1
		.amdhsa_reserve_flat_scratch 0
		.amdhsa_float_round_mode_32 0
		.amdhsa_float_round_mode_16_64 0
		.amdhsa_float_denorm_mode_32 3
		.amdhsa_float_denorm_mode_16_64 3
		.amdhsa_dx10_clamp 1
		.amdhsa_ieee_mode 1
		.amdhsa_fp16_overflow 0
		.amdhsa_tg_split 0
		.amdhsa_exception_fp_ieee_invalid_op 0
		.amdhsa_exception_fp_denorm_src 0
		.amdhsa_exception_fp_ieee_div_zero 0
		.amdhsa_exception_fp_ieee_overflow 0
		.amdhsa_exception_fp_ieee_underflow 0
		.amdhsa_exception_fp_ieee_inexact 0
		.amdhsa_exception_int_div_zero 0
	.end_amdhsa_kernel
	.section	.text._ZN2at6native12_GLOBAL__N_121max_pool_forward_nhwcIN3c104HalfEiEEvPKT_iT0_S8_S8_S8_S8_iiiiiiiiS8_S8_S8_S8_iiPS5_Pl,"axG",@progbits,_ZN2at6native12_GLOBAL__N_121max_pool_forward_nhwcIN3c104HalfEiEEvPKT_iT0_S8_S8_S8_S8_iiiiiiiiS8_S8_S8_S8_iiPS5_Pl,comdat
.Lfunc_end8:
	.size	_ZN2at6native12_GLOBAL__N_121max_pool_forward_nhwcIN3c104HalfEiEEvPKT_iT0_S8_S8_S8_S8_iiiiiiiiS8_S8_S8_S8_iiPS5_Pl, .Lfunc_end8-_ZN2at6native12_GLOBAL__N_121max_pool_forward_nhwcIN3c104HalfEiEEvPKT_iT0_S8_S8_S8_S8_iiiiiiiiS8_S8_S8_S8_iiPS5_Pl
                                        ; -- End function
	.section	.AMDGPU.csdata,"",@progbits
; Kernel info:
; codeLenInByte = 3188
; NumSgprs: 71
; NumVgprs: 46
; NumAgprs: 0
; TotalNumVgprs: 46
; ScratchSize: 0
; MemoryBound: 0
; FloatMode: 240
; IeeeMode: 1
; LDSByteSize: 0 bytes/workgroup (compile time only)
; SGPRBlocks: 8
; VGPRBlocks: 5
; NumSGPRsForWavesPerEU: 71
; NumVGPRsForWavesPerEU: 46
; AccumOffset: 48
; Occupancy: 8
; WaveLimiterHint : 1
; COMPUTE_PGM_RSRC2:SCRATCH_EN: 0
; COMPUTE_PGM_RSRC2:USER_SGPR: 6
; COMPUTE_PGM_RSRC2:TRAP_HANDLER: 0
; COMPUTE_PGM_RSRC2:TGID_X_EN: 1
; COMPUTE_PGM_RSRC2:TGID_Y_EN: 1
; COMPUTE_PGM_RSRC2:TGID_Z_EN: 1
; COMPUTE_PGM_RSRC2:TIDIG_COMP_CNT: 2
; COMPUTE_PGM_RSRC3_GFX90A:ACCUM_OFFSET: 11
; COMPUTE_PGM_RSRC3_GFX90A:TG_SPLIT: 0
	.section	.text._ZN2at6native12_GLOBAL__N_121max_pool_forward_nhwcIN3c104HalfElEEvPKT_iT0_S8_S8_S8_S8_iiiiiiiiS8_S8_S8_S8_iiPS5_Pl,"axG",@progbits,_ZN2at6native12_GLOBAL__N_121max_pool_forward_nhwcIN3c104HalfElEEvPKT_iT0_S8_S8_S8_S8_iiiiiiiiS8_S8_S8_S8_iiPS5_Pl,comdat
	.globl	_ZN2at6native12_GLOBAL__N_121max_pool_forward_nhwcIN3c104HalfElEEvPKT_iT0_S8_S8_S8_S8_iiiiiiiiS8_S8_S8_S8_iiPS5_Pl ; -- Begin function _ZN2at6native12_GLOBAL__N_121max_pool_forward_nhwcIN3c104HalfElEEvPKT_iT0_S8_S8_S8_S8_iiiiiiiiS8_S8_S8_S8_iiPS5_Pl
	.p2align	8
	.type	_ZN2at6native12_GLOBAL__N_121max_pool_forward_nhwcIN3c104HalfElEEvPKT_iT0_S8_S8_S8_S8_iiiiiiiiS8_S8_S8_S8_iiPS5_Pl,@function
_ZN2at6native12_GLOBAL__N_121max_pool_forward_nhwcIN3c104HalfElEEvPKT_iT0_S8_S8_S8_S8_iiiiiiiiS8_S8_S8_S8_iiPS5_Pl: ; @_ZN2at6native12_GLOBAL__N_121max_pool_forward_nhwcIN3c104HalfElEEvPKT_iT0_S8_S8_S8_S8_iiiiiiiiS8_S8_S8_S8_iiPS5_Pl
; %bb.0:
	s_load_dwordx4 s[0:3], s[4:5], 0x94
	s_load_dwordx2 s[12:13], s[4:5], 0x78
	v_bfe_u32 v6, v0, 10, 10
	v_bfe_u32 v7, v0, 20, 10
	v_and_b32_e32 v4, 0x3ff, v0
	s_waitcnt lgkmcnt(0)
	s_and_b32 s14, s2, 0xffff
	s_lshr_b32 s62, s2, 16
	s_mul_i32 s9, s14, s13
	s_and_b32 s33, s3, 0xffff
	s_mul_i32 s15, s9, s62
	v_mad_u32_u24 v5, v7, s62, v6
	s_mul_i32 s15, s15, s33
	v_mad_u64_u32 v[0:1], s[2:3], v5, s14, v[4:5]
	v_cmp_gt_u32_e32 vcc, s15, v0
	s_and_saveexec_b64 s[2:3], vcc
	s_cbranch_execz .LBB9_3
; %bb.1:
	s_mul_i32 s16, s62, s14
	s_lshl_b32 s10, s15, 3
	s_mul_i32 s16, s16, s33
	s_add_i32 s10, s10, 0
	v_mov_b32_e32 v2, 0
	v_lshl_add_u32 v1, v0, 1, s10
	s_lshl_b32 s17, s16, 1
	v_lshl_add_u32 v8, v0, 3, 0
	s_lshl_b32 s18, s16, 3
	s_mov_b64 s[10:11], 0
	v_mov_b32_e32 v9, 0xfffffc00
	v_mov_b32_e32 v3, v2
.LBB9_2:                                ; =>This Inner Loop Header: Depth=1
	v_add_u32_e32 v0, s16, v0
	v_cmp_le_u32_e32 vcc, s15, v0
	ds_write_b16 v1, v9
	ds_write_b64 v8, v[2:3]
	v_add_u32_e32 v1, s17, v1
	s_or_b64 s[10:11], vcc, s[10:11]
	v_add_u32_e32 v8, s18, v8
	s_andn2_b64 exec, exec, s[10:11]
	s_cbranch_execnz .LBB9_2
.LBB9_3:
	s_or_b64 exec, exec, s[2:3]
	v_cvt_f32_u32_e32 v0, s1
	s_load_dword s2, s[4:5], 0x8
	s_load_dwordx8 s[20:27], s[4:5], 0x10
	s_sub_i32 s10, 0, s1
	s_mov_b32 s19, 0
	v_rcp_iflag_f32_e32 v0, v0
	s_waitcnt lgkmcnt(0)
	v_cvt_f32_u32_e32 v1, s2
	s_add_i32 s3, s26, s1
	s_add_i32 s11, s3, -1
	v_mul_f32_e32 v0, 0x4f7ffffe, v0
	v_cvt_u32_f32_e32 v0, v0
	v_rcp_iflag_f32_e32 v1, v1
	s_barrier
	v_readfirstlane_b32 s16, v0
	s_mul_i32 s10, s10, s16
	s_mul_hi_u32 s10, s16, s10
	v_cvt_f32_u32_e32 v0, s0
	s_add_i32 s16, s16, s10
	s_mul_hi_u32 s10, s11, s16
	s_mul_i32 s16, s10, s1
	s_sub_i32 s11, s11, s16
	v_rcp_iflag_f32_e32 v0, v0
	s_add_i32 s16, s10, 1
	s_sub_i32 s17, s11, s1
	s_cmp_ge_u32 s11, s1
	s_cselect_b32 s10, s16, s10
	s_cselect_b32 s11, s17, s11
	v_mul_f32_e32 v0, 0x4f7ffffe, v0
	s_add_i32 s16, s10, 1
	v_cvt_u32_f32_e32 v0, v0
	s_cmp_ge_u32 s11, s1
	v_mul_f32_e32 v1, 0x4f7ffffe, v1
	s_cselect_b32 s10, s16, s10
	v_cvt_u32_f32_e32 v1, v1
	s_mul_i32 s8, s10, s8
	v_add_u32_e32 v17, s8, v7
	v_readfirstlane_b32 s1, v0
	v_add_u32_e32 v0, s10, v17
	v_min_i32_e32 v34, s26, v0
	v_readfirstlane_b32 s3, v1
	v_cmp_lt_i32_e32 vcc, v17, v34
	s_and_saveexec_b64 s[10:11], vcc
	s_cbranch_execz .LBB9_78
; %bb.4:
	s_sub_i32 s8, 0, s2
	s_mul_i32 s8, s8, s3
	s_load_dwordx2 s[28:29], s[4:5], 0x30
	s_load_dwordx2 s[10:11], s[4:5], 0x0
	s_mul_hi_u32 s8, s3, s8
	s_sub_i32 s16, 0, s0
	s_add_i32 s3, s3, s8
	s_mul_i32 s16, s16, s1
	s_mul_hi_u32 s3, s6, s3
	s_mul_hi_u32 s16, s1, s16
	s_add_i32 s1, s1, s16
	s_mul_i32 s16, s3, s2
	s_waitcnt lgkmcnt(0)
	s_add_i32 s8, s28, s0
	s_lshl_b32 s15, s15, 3
	s_sub_i32 s16, s6, s16
	s_add_i32 s8, s8, -1
	s_add_i32 s15, s15, 0
	s_add_i32 s17, s3, 1
	s_sub_i32 s18, s16, s2
	s_cmp_ge_u32 s16, s2
	s_cselect_b32 s3, s17, s3
	s_load_dwordx8 s[36:43], s[4:5], 0x58
	s_cselect_b32 s16, s18, s16
	s_add_i32 s17, s3, 1
	s_cmp_ge_u32 s16, s2
	s_cselect_b32 s16, s17, s3
	s_mul_i32 s2, s16, s2
	s_sub_i32 s17, s6, s2
	s_ashr_i32 s52, s17, 31
	s_waitcnt lgkmcnt(0)
	s_mul_i32 s2, s17, s37
	s_mul_hi_u32 s3, s17, s36
	s_add_i32 s2, s3, s2
	s_mul_i32 s3, s52, s36
	s_add_i32 s3, s2, s3
	s_mul_i32 s2, s17, s36
	s_mul_hi_u32 s1, s8, s1
	s_lshl_b64 s[2:3], s[2:3], 1
	s_add_u32 s63, s10, s2
	s_mul_i32 s2, s1, s0
	s_addc_u32 s64, s11, s3
	s_sub_i32 s2, s8, s2
	s_add_i32 s3, s1, 1
	s_sub_i32 s6, s2, s0
	s_cmp_ge_u32 s2, s0
	s_cselect_b32 s1, s3, s1
	s_load_dwordx8 s[44:51], s[4:5], 0x38
	s_cselect_b32 s2, s6, s2
	s_add_i32 s3, s1, 1
	s_cmp_ge_u32 s2, s0
	s_cselect_b32 s0, s3, s1
	s_mul_i32 s1, s0, s7
	v_mul_lo_u32 v0, s9, v5
	v_add_u32_e32 v35, s1, v6
	v_lshlrev_b32_e32 v8, 1, v0
	v_lshlrev_b32_e32 v9, 3, v0
	v_add_u32_e32 v0, s0, v35
	s_waitcnt lgkmcnt(0)
	s_add_i32 s0, s44, -1
	s_add_i32 s2, s45, -1
	s_mul_i32 s0, s0, s50
	s_mul_i32 s2, s2, s51
	s_add_i32 s67, s0, 1
	s_add_i32 s71, s2, 1
	s_ashr_i32 s65, s48, 31
	s_ashr_i32 s68, s67, 31
	;; [unrolled: 1-line block ×6, first 2 shown]
	s_max_i32 s2, s44, s45
	s_cmp_lt_i32 s2, 4
	s_mul_i32 s18, s14, s12
	v_pk_mov_b32 v[2:3], s[20:21], s[20:21] op_sel:[0,1]
	s_mul_i32 s16, s16, s14
	s_mov_b32 s30, s50
	s_cselect_b64 s[2:3], -1, 0
	v_cmp_ge_i64_e32 vcc, s[18:19], v[2:3]
	v_min_i32_e32 v36, s28, v0
	v_add_u32_e32 v0, s16, v4
	s_and_b64 s[34:35], s[2:3], vcc
	s_ashr_i32 s16, s12, 31
	v_cmp_gt_u64_e64 s[6:7], s[30:31], 1
	s_and_b64 s[6:7], s[6:7], exec
	s_cselect_b32 s75, s31, 0
	s_cselect_b32 s76, s50, 1
	s_add_u32 s6, s49, s51
	v_ashrrev_i32_e32 v1, 31, v0
	s_addc_u32 s7, s69, s73
	s_load_dwordx4 s[8:11], s[4:5], 0x80
	v_mul_lo_u32 v6, v1, s38
	v_mul_lo_u32 v7, v0, s39
	v_mad_u64_u32 v[2:3], s[4:5], v0, s38, 0
	s_sub_u32 s44, 0, s6
	v_add3_u32 v3, v3, v7, v6
	s_subb_u32 s45, 0, s7
	s_mul_hi_u32 s6, s38, s12
	s_mul_i32 s7, s38, s16
	v_lshlrev_b64 v[6:7], 1, v[2:3]
	s_add_i32 s6, s6, s7
	s_mul_i32 s7, s39, s12
	v_mov_b32_e32 v10, s64
	v_add_co_u32_e32 v37, vcc, s63, v6
	s_add_i32 s6, s6, s7
	s_mul_i32 s7, s38, s12
	v_addc_co_u32_e32 v38, vcc, v10, v7, vcc
	s_mul_hi_i32 s19, s14, s12
	s_mul_i32 s6, s6, s14
	s_mul_hi_u32 s12, s7, s14
	v_lshlrev_b32_e32 v7, 1, v5
	v_mul_lo_u32 v5, s13, v5
	s_add_i32 s77, s12, s6
	s_mul_i32 s6, s62, s33
	v_mul_lo_u32 v5, v5, s14
	v_lshlrev_b32_e32 v6, 1, v4
	v_lshlrev_b32_e32 v4, 3, v4
	v_lshl_add_u32 v7, s6, 3, v7
	v_lshlrev_b32_e32 v5, 3, v5
	v_add3_u32 v40, 0, v9, v4
	s_mul_i32 s78, s7, s14
	v_mul_lo_u32 v7, s13, v7
	v_add3_u32 v42, v5, v4, 0
	v_lshlrev_b64 v[4:5], 3, v[0:1]
	s_mul_i32 s6, s28, s27
	s_mul_hi_u32 s7, s28, s26
	v_mul_lo_u32 v7, v7, s14
	s_waitcnt lgkmcnt(0)
	v_add_co_u32_e32 v4, vcc, s10, v4
	s_add_i32 s6, s7, s6
	s_mul_i32 s7, s29, s26
	s_mul_i32 s10, s28, s26
	v_add3_u32 v39, s15, v8, v6
	v_add3_u32 v41, v7, v6, 0
	v_mov_b32_e32 v6, s11
	s_add_i32 s6, s6, s7
	s_mul_i32 s7, s10, s52
	s_mul_hi_u32 s11, s10, s17
	v_addc_co_u32_e32 v5, vcc, v6, v5, vcc
	s_add_i32 s7, s11, s7
	s_mul_i32 s6, s6, s17
	v_lshlrev_b64 v[6:7], 1, v[0:1]
	s_add_i32 s7, s7, s6
	s_mul_i32 s6, s10, s17
	v_mov_b32_e32 v8, s9
	v_add_co_u32_e32 v6, vcc, s8, v6
	s_mov_b32 s66, s48
	v_cmp_lt_i32_e64 s[0:1], v35, v36
	s_mov_b32 s70, s49
	s_mov_b32 s74, s51
	v_cmp_le_i64_e64 s[2:3], s[20:21], v[0:1]
	v_cmp_gt_i64_e64 s[4:5], s[20:21], v[0:1]
	s_mov_b64 s[36:37], 0
	s_lshl_b32 s79, s14, 1
	s_lshl_b32 s80, s14, 3
	s_lshl_b64 s[26:27], s[6:7], 3
	s_lshl_b64 s[38:39], s[18:19], 3
	v_addc_co_u32_e32 v7, vcc, v8, v7, vcc
	s_lshl_b64 s[48:49], s[6:7], 1
	s_lshl_b64 s[52:53], s[18:19], 1
	v_mov_b32_e32 v8, 0
	v_mov_b32_e32 v43, 0xfffffc00
	s_branch .LBB9_6
.LBB9_5:                                ;   in Loop: Header=BB9_6 Depth=1
	s_or_b64 exec, exec, s[54:55]
	v_add_u32_e32 v17, s33, v17
	v_cmp_ge_i32_e32 vcc, v17, v34
	s_or_b64 s[36:37], vcc, s[36:37]
	s_andn2_b64 exec, exec, s[36:37]
	s_cbranch_execz .LBB9_78
.LBB9_6:                                ; =>This Loop Header: Depth=1
                                        ;     Child Loop BB9_9 Depth 2
                                        ;       Child Loop BB9_14 Depth 3
                                        ;       Child Loop BB9_67 Depth 3
                                        ;         Child Loop BB9_70 Depth 4
                                        ;           Child Loop BB9_73 Depth 5
                                        ;       Child Loop BB9_77 Depth 3
	s_and_saveexec_b64 s[54:55], s[0:1]
	s_cbranch_execz .LBB9_5
; %bb.7:                                ;   in Loop: Header=BB9_6 Depth=1
	v_ashrrev_i32_e32 v9, 31, v17
	v_mul_lo_u32 v12, s29, v17
	v_mul_lo_u32 v9, s28, v9
	v_mad_u64_u32 v[10:11], s[6:7], s28, v17, 0
	v_add3_u32 v11, v11, v9, v12
	v_mad_i64_i32 v[12:13], s[6:7], v17, s46, 0
	v_mov_b32_e32 v9, s65
	v_subrev_co_u32_e32 v12, vcc, s66, v12
	v_subb_co_u32_e32 v13, vcc, v13, v9, vcc
	v_mov_b32_e32 v9, s68
	v_add_co_u32_e32 v14, vcc, s67, v12
	v_addc_co_u32_e32 v15, vcc, v13, v9, vcc
	v_mov_b32_e32 v9, s23
	v_cmp_gt_i64_e32 vcc, s[22:23], v[14:15]
	v_cndmask_b32_e32 v15, v9, v15, vcc
	v_mov_b32_e32 v9, s22
	v_cndmask_b32_e32 v14, v9, v14, vcc
	s_mov_b64 s[56:57], 0
	v_mov_b32_e32 v16, v35
	s_branch .LBB9_9
.LBB9_8:                                ;   in Loop: Header=BB9_9 Depth=2
	s_or_b64 exec, exec, s[6:7]
	v_add_u32_e32 v16, s62, v16
	v_cmp_ge_i32_e32 vcc, v16, v36
	s_or_b64 s[56:57], vcc, s[56:57]
	s_andn2_b64 exec, exec, s[56:57]
	s_cbranch_execz .LBB9_5
.LBB9_9:                                ;   Parent Loop BB9_6 Depth=1
                                        ; =>  This Loop Header: Depth=2
                                        ;       Child Loop BB9_14 Depth 3
                                        ;       Child Loop BB9_67 Depth 3
                                        ;         Child Loop BB9_70 Depth 4
                                        ;           Child Loop BB9_73 Depth 5
                                        ;       Child Loop BB9_77 Depth 3
	v_cmp_lt_i64_e32 vcc, 0, v[12:13]
	v_lshrrev_b32_e32 v20, 31, v13
	v_cndmask_b32_e32 v9, 0, v13, vcc
	v_cndmask_b32_e32 v18, 0, v12, vcc
	v_add_co_u32_e32 v19, vcc, v12, v20
	v_addc_co_u32_e32 v21, vcc, 0, v13, vcc
	v_sub_co_u32_e32 v18, vcc, v18, v19
	v_subb_co_u32_e32 v19, vcc, v9, v21, vcc
	v_or_b32_e32 v9, s75, v19
	v_cmp_ne_u64_e32 vcc, 0, v[8:9]
                                        ; implicit-def: $vgpr22_vgpr23
	s_and_saveexec_b64 s[6:7], vcc
	s_xor_b64 s[8:9], exec, s[6:7]
	s_cbranch_execz .LBB9_11
; %bb.10:                               ;   in Loop: Header=BB9_9 Depth=2
	v_cvt_f32_u32_e32 v9, s76
	v_cvt_f32_u32_e32 v21, s75
	s_sub_u32 s6, 0, s76
	s_subb_u32 s7, 0, s75
	v_mac_f32_e32 v9, 0x4f800000, v21
	v_rcp_f32_e32 v9, v9
	v_mul_f32_e32 v9, 0x5f7ffffc, v9
	v_mul_f32_e32 v21, 0x2f800000, v9
	v_trunc_f32_e32 v21, v21
	v_mac_f32_e32 v9, 0xcf800000, v21
	v_cvt_u32_f32_e32 v21, v21
	v_cvt_u32_f32_e32 v9, v9
	v_mul_lo_u32 v22, s6, v21
	v_mul_hi_u32 v24, s6, v9
	v_mul_lo_u32 v23, s7, v9
	v_add_u32_e32 v22, v24, v22
	v_mul_lo_u32 v25, s6, v9
	v_add_u32_e32 v22, v22, v23
	v_mul_hi_u32 v24, v9, v25
	v_mul_lo_u32 v26, v9, v22
	v_mul_hi_u32 v23, v9, v22
	v_add_co_u32_e32 v24, vcc, v24, v26
	v_addc_co_u32_e32 v23, vcc, 0, v23, vcc
	v_mul_hi_u32 v27, v21, v25
	v_mul_lo_u32 v25, v21, v25
	v_add_co_u32_e32 v24, vcc, v24, v25
	v_mul_hi_u32 v26, v21, v22
	v_addc_co_u32_e32 v23, vcc, v23, v27, vcc
	v_addc_co_u32_e32 v24, vcc, 0, v26, vcc
	v_mul_lo_u32 v22, v21, v22
	v_add_co_u32_e32 v22, vcc, v23, v22
	v_addc_co_u32_e32 v23, vcc, 0, v24, vcc
	v_add_co_u32_e32 v9, vcc, v9, v22
	v_addc_co_u32_e32 v21, vcc, v21, v23, vcc
	v_mul_lo_u32 v22, s6, v21
	v_mul_hi_u32 v23, s6, v9
	v_add_u32_e32 v22, v23, v22
	v_mul_lo_u32 v23, s7, v9
	v_add_u32_e32 v22, v22, v23
	v_mul_lo_u32 v24, s6, v9
	v_mul_hi_u32 v25, v21, v24
	v_mul_lo_u32 v26, v21, v24
	v_mul_lo_u32 v28, v9, v22
	v_mul_hi_u32 v24, v9, v24
	v_mul_hi_u32 v27, v9, v22
	v_add_co_u32_e32 v24, vcc, v24, v28
	v_addc_co_u32_e32 v27, vcc, 0, v27, vcc
	v_add_co_u32_e32 v24, vcc, v24, v26
	v_mul_hi_u32 v23, v21, v22
	v_addc_co_u32_e32 v24, vcc, v27, v25, vcc
	v_addc_co_u32_e32 v23, vcc, 0, v23, vcc
	v_mul_lo_u32 v22, v21, v22
	v_add_co_u32_e32 v22, vcc, v24, v22
	v_addc_co_u32_e32 v23, vcc, 0, v23, vcc
	v_add_co_u32_e32 v9, vcc, v9, v22
	v_addc_co_u32_e32 v21, vcc, v21, v23, vcc
	v_mad_u64_u32 v[22:23], s[6:7], v18, v21, 0
	v_mul_hi_u32 v24, v18, v9
	v_add_co_u32_e32 v26, vcc, v24, v22
	v_addc_co_u32_e32 v27, vcc, 0, v23, vcc
	v_mad_u64_u32 v[24:25], s[6:7], v19, v9, 0
	v_add_co_u32_e32 v9, vcc, v26, v24
	v_mad_u64_u32 v[22:23], s[6:7], v19, v21, 0
	v_addc_co_u32_e32 v9, vcc, v27, v25, vcc
	v_addc_co_u32_e32 v21, vcc, 0, v23, vcc
	v_add_co_u32_e32 v9, vcc, v9, v22
	v_addc_co_u32_e32 v21, vcc, 0, v21, vcc
	v_mul_lo_u32 v24, s75, v9
	v_mul_lo_u32 v25, s76, v21
	v_mad_u64_u32 v[22:23], s[6:7], s76, v9, 0
	v_add3_u32 v23, v23, v25, v24
	v_sub_u32_e32 v24, v19, v23
	v_mov_b32_e32 v25, s75
	v_sub_co_u32_e32 v18, vcc, v18, v22
	v_subb_co_u32_e64 v22, s[6:7], v24, v25, vcc
	v_subrev_co_u32_e64 v24, s[6:7], s76, v18
	v_subbrev_co_u32_e64 v22, s[6:7], 0, v22, s[6:7]
	v_cmp_le_u32_e64 s[6:7], s75, v22
	v_cndmask_b32_e64 v25, 0, -1, s[6:7]
	v_cmp_le_u32_e64 s[6:7], s76, v24
	v_cndmask_b32_e64 v24, 0, -1, s[6:7]
	v_cmp_eq_u32_e64 s[6:7], s75, v22
	v_cndmask_b32_e64 v22, v25, v24, s[6:7]
	v_add_co_u32_e64 v24, s[6:7], 2, v9
	v_subb_co_u32_e32 v19, vcc, v19, v23, vcc
	v_addc_co_u32_e64 v25, s[6:7], 0, v21, s[6:7]
	v_cmp_le_u32_e32 vcc, s75, v19
	v_add_co_u32_e64 v26, s[6:7], 1, v9
	v_cndmask_b32_e64 v23, 0, -1, vcc
	v_cmp_le_u32_e32 vcc, s76, v18
	v_addc_co_u32_e64 v27, s[6:7], 0, v21, s[6:7]
	v_cndmask_b32_e64 v18, 0, -1, vcc
	v_cmp_eq_u32_e32 vcc, s75, v19
	v_cmp_ne_u32_e64 s[6:7], 0, v22
	v_cndmask_b32_e32 v18, v23, v18, vcc
	v_cndmask_b32_e64 v22, v27, v25, s[6:7]
	v_cmp_ne_u32_e32 vcc, 0, v18
	v_cndmask_b32_e64 v18, v26, v24, s[6:7]
	v_cndmask_b32_e32 v23, v21, v22, vcc
	v_cndmask_b32_e32 v22, v9, v18, vcc
                                        ; implicit-def: $vgpr18
.LBB9_11:                               ;   in Loop: Header=BB9_9 Depth=2
	s_andn2_saveexec_b64 s[6:7], s[8:9]
	s_cbranch_execz .LBB9_13
; %bb.12:                               ;   in Loop: Header=BB9_9 Depth=2
	v_cvt_f32_u32_e32 v9, s76
	s_sub_i32 s8, 0, s76
	v_mov_b32_e32 v23, v8
	v_rcp_iflag_f32_e32 v9, v9
	v_mul_f32_e32 v9, 0x4f7ffffe, v9
	v_cvt_u32_f32_e32 v9, v9
	v_mul_lo_u32 v19, s8, v9
	v_mul_hi_u32 v19, v9, v19
	v_add_u32_e32 v9, v9, v19
	v_mul_hi_u32 v9, v18, v9
	v_mul_lo_u32 v19, v9, s76
	v_sub_u32_e32 v18, v18, v19
	v_add_u32_e32 v21, 1, v9
	v_subrev_u32_e32 v19, s76, v18
	v_cmp_le_u32_e32 vcc, s76, v18
	v_cndmask_b32_e32 v18, v18, v19, vcc
	v_cndmask_b32_e32 v9, v9, v21, vcc
	v_add_u32_e32 v19, 1, v9
	v_cmp_le_u32_e32 vcc, s76, v18
	v_cndmask_b32_e32 v22, v9, v19, vcc
.LBB9_13:                               ;   in Loop: Header=BB9_9 Depth=2
	s_or_b64 exec, exec, s[6:7]
	v_pk_mov_b32 v[18:19], s[44:45], s[44:45] op_sel:[0,1]
	v_mad_i64_i32 v[24:25], s[6:7], s47, v16, 0
	v_mad_i64_i32 v[18:19], s[6:7], s47, v16, v[18:19]
	v_ashrrev_i32_e32 v9, 31, v16
	s_mov_b64 s[6:7], 0
.LBB9_14:                               ;   Parent Loop BB9_6 Depth=1
                                        ;     Parent Loop BB9_9 Depth=2
                                        ; =>    This Inner Loop Header: Depth=3
	v_mov_b32_e32 v21, s73
	v_add_co_u32_e32 v18, vcc, s74, v18
	v_addc_co_u32_e32 v19, vcc, v19, v21, vcc
	v_cmp_lt_i64_e32 vcc, -1, v[18:19]
	s_or_b64 s[6:7], vcc, s[6:7]
	s_andn2_b64 exec, exec, s[6:7]
	s_cbranch_execnz .LBB9_14
; %bb.15:                               ;   in Loop: Header=BB9_9 Depth=2
	s_or_b64 exec, exec, s[6:7]
	v_mov_b32_e32 v21, s69
	v_subrev_co_u32_e32 v24, vcc, s70, v24
	v_subb_co_u32_e32 v21, vcc, v25, v21, vcc
	v_mov_b32_e32 v25, s72
	v_add_co_u32_e32 v24, vcc, s71, v24
	v_addc_co_u32_e32 v25, vcc, v21, v25, vcc
	v_add_co_u32_e32 v22, vcc, v20, v22
	v_addc_co_u32_e32 v23, vcc, 0, v23, vcc
	v_mov_b32_e32 v20, s25
	v_cmp_gt_i64_e32 vcc, s[24:25], v[24:25]
	v_cndmask_b32_e32 v21, v20, v25, vcc
	v_mov_b32_e32 v20, s24
	v_cndmask_b32_e32 v20, v20, v24, vcc
	v_mul_lo_u32 v24, v22, s31
	v_mul_lo_u32 v23, v23, s30
	v_mad_u64_u32 v[12:13], s[6:7], v22, s30, v[12:13]
	v_add3_u32 v13, v23, v13, v24
	s_mov_b64 s[6:7], -1
	s_and_b64 vcc, exec, s[34:35]
	s_cbranch_vccnz .LBB9_18
; %bb.16:                               ;   in Loop: Header=BB9_9 Depth=2
	s_and_b64 vcc, exec, s[6:7]
	s_cbranch_vccnz .LBB9_64
.LBB9_17:                               ;   in Loop: Header=BB9_9 Depth=2
	s_and_saveexec_b64 s[6:7], s[4:5]
	s_cbranch_execz .LBB9_8
	s_branch .LBB9_76
.LBB9_18:                               ;   in Loop: Header=BB9_9 Depth=2
	v_ashrrev_i32_e32 v29, 31, v12
	v_mul_lo_u32 v24, v12, s41
	v_mul_lo_u32 v25, v29, s40
	v_mad_u64_u32 v[22:23], s[6:7], v12, s40, 0
	v_add3_u32 v23, v23, v24, v25
	v_lshlrev_b64 v[22:23], 1, v[22:23]
	v_add_co_u32_e64 v30, s[6:7], v37, v22
	v_mov_b32_e32 v28, v12
	v_addc_co_u32_e64 v31, s[6:7], v38, v23, s[6:7]
	v_ashrrev_i32_e32 v23, 31, v18
	v_mov_b32_e32 v22, v18
	v_cmp_le_i64_e32 vcc, v[14:15], v[28:29]
	v_cmp_le_i64_e64 s[10:11], v[20:21], v[22:23]
	s_or_b64 s[6:7], vcc, s[10:11]
	s_or_b64 s[6:7], s[6:7], s[2:3]
	s_xor_b64 s[6:7], s[6:7], -1
	v_mov_b32_e32 v44, 0
	v_mul_lo_u32 v51, v23, s42
	v_mul_lo_u32 v53, v22, s43
	v_mov_b32_e32 v48, 0
	s_and_saveexec_b64 s[8:9], s[6:7]
	s_cbranch_execz .LBB9_20
; %bb.19:                               ;   in Loop: Header=BB9_9 Depth=2
	v_mad_u64_u32 v[24:25], s[6:7], v22, s42, 0
	v_add3_u32 v25, v25, v53, v51
	v_lshlrev_b64 v[24:25], 1, v[24:25]
	v_add_co_u32_e64 v24, s[6:7], v30, v24
	v_addc_co_u32_e64 v25, s[6:7], v31, v25, s[6:7]
	global_load_ushort v48, v[24:25], off
.LBB9_20:                               ;   in Loop: Header=BB9_9 Depth=2
	s_or_b64 exec, exec, s[8:9]
	v_add_u32_e32 v24, s51, v18
	v_ashrrev_i32_e32 v25, 31, v24
	v_cmp_le_i64_e64 s[12:13], v[20:21], v[24:25]
	s_or_b64 s[6:7], vcc, s[12:13]
	s_or_b64 s[6:7], s[6:7], s[2:3]
	s_xor_b64 s[6:7], s[6:7], -1
	v_mul_lo_u32 v54, v25, s42
	v_mul_lo_u32 v55, v24, s43
	s_and_saveexec_b64 s[8:9], s[6:7]
	s_cbranch_execz .LBB9_22
; %bb.21:                               ;   in Loop: Header=BB9_9 Depth=2
	v_mad_u64_u32 v[26:27], s[6:7], v24, s42, 0
	v_add3_u32 v27, v27, v55, v54
	v_lshlrev_b64 v[26:27], 1, v[26:27]
	v_add_co_u32_e64 v26, s[6:7], v30, v26
	v_addc_co_u32_e64 v27, s[6:7], v31, v27, s[6:7]
	global_load_ushort v44, v[26:27], off
.LBB9_22:                               ;   in Loop: Header=BB9_9 Depth=2
	s_or_b64 exec, exec, s[8:9]
	v_add_u32_e32 v26, s51, v24
	v_ashrrev_i32_e32 v27, 31, v26
	v_cmp_le_i64_e64 s[14:15], v[20:21], v[26:27]
	s_or_b64 s[6:7], vcc, s[14:15]
	s_or_b64 s[6:7], s[6:7], s[2:3]
	s_xor_b64 s[6:7], s[6:7], -1
	v_mov_b32_e32 v45, 0
	v_mul_lo_u32 v56, v27, s42
	v_mul_lo_u32 v57, v26, s43
	v_mov_b32_e32 v49, 0
	s_and_saveexec_b64 s[8:9], s[6:7]
	s_cbranch_execz .LBB9_24
; %bb.23:                               ;   in Loop: Header=BB9_9 Depth=2
	v_mad_u64_u32 v[32:33], s[6:7], v26, s42, 0
	v_add3_u32 v33, v33, v57, v56
	v_lshlrev_b64 v[32:33], 1, v[32:33]
	v_add_co_u32_e64 v30, s[6:7], v30, v32
	v_addc_co_u32_e64 v31, s[6:7], v31, v33, s[6:7]
	global_load_ushort v49, v[30:31], off
.LBB9_24:                               ;   in Loop: Header=BB9_9 Depth=2
	s_or_b64 exec, exec, s[8:9]
	v_add_u32_e32 v30, s50, v12
	v_ashrrev_i32_e32 v31, 31, v30
	v_mul_lo_u32 v46, v31, s40
	v_mul_lo_u32 v47, v30, s41
	v_mad_u64_u32 v[32:33], s[6:7], v30, s40, 0
	v_add3_u32 v33, v33, v47, v46
	v_lshlrev_b64 v[32:33], 1, v[32:33]
	v_add_co_u32_e64 v32, s[8:9], v37, v32
	v_cmp_le_i64_e64 s[6:7], v[14:15], v[30:31]
	v_addc_co_u32_e64 v33, s[8:9], v38, v33, s[8:9]
	s_or_b64 s[8:9], s[6:7], s[10:11]
	s_or_b64 s[8:9], s[8:9], s[2:3]
	s_xor_b64 s[8:9], s[8:9], -1
	s_and_saveexec_b64 s[16:17], s[8:9]
	s_cbranch_execz .LBB9_26
; %bb.25:                               ;   in Loop: Header=BB9_9 Depth=2
	v_mad_u64_u32 v[46:47], s[8:9], v22, s42, 0
	v_add3_u32 v47, v47, v53, v51
	v_lshlrev_b64 v[46:47], 1, v[46:47]
	v_add_co_u32_e64 v46, s[8:9], v32, v46
	v_addc_co_u32_e64 v47, s[8:9], v33, v47, s[8:9]
	global_load_ushort v45, v[46:47], off
.LBB9_26:                               ;   in Loop: Header=BB9_9 Depth=2
	s_or_b64 exec, exec, s[16:17]
	s_or_b64 s[8:9], s[6:7], s[12:13]
	s_or_b64 s[8:9], s[8:9], s[2:3]
	s_xor_b64 s[8:9], s[8:9], -1
	v_mov_b32_e32 v46, 0
	v_mov_b32_e32 v50, 0
	s_and_saveexec_b64 s[16:17], s[8:9]
	s_cbranch_execz .LBB9_28
; %bb.27:                               ;   in Loop: Header=BB9_9 Depth=2
	v_mad_u64_u32 v[58:59], s[8:9], v24, s42, 0
	v_add3_u32 v59, v59, v55, v54
	v_lshlrev_b64 v[58:59], 1, v[58:59]
	v_add_co_u32_e64 v58, s[8:9], v32, v58
	v_addc_co_u32_e64 v59, s[8:9], v33, v59, s[8:9]
	global_load_ushort v50, v[58:59], off
.LBB9_28:                               ;   in Loop: Header=BB9_9 Depth=2
	s_or_b64 exec, exec, s[16:17]
	s_or_b64 s[8:9], s[6:7], s[14:15]
	s_or_b64 s[8:9], s[8:9], s[2:3]
	s_xor_b64 s[8:9], s[8:9], -1
	s_and_saveexec_b64 s[16:17], s[8:9]
	s_cbranch_execz .LBB9_30
; %bb.29:                               ;   in Loop: Header=BB9_9 Depth=2
	v_mad_u64_u32 v[46:47], s[8:9], v26, s42, 0
	v_add3_u32 v47, v47, v57, v56
	v_lshlrev_b64 v[46:47], 1, v[46:47]
	v_add_co_u32_e64 v32, s[8:9], v32, v46
	v_addc_co_u32_e64 v33, s[8:9], v33, v47, s[8:9]
	global_load_ushort v46, v[32:33], off
.LBB9_30:                               ;   in Loop: Header=BB9_9 Depth=2
	s_or_b64 exec, exec, s[16:17]
	v_add_u32_e32 v32, s50, v30
	v_ashrrev_i32_e32 v33, 31, v32
	v_mul_lo_u32 v47, v33, s40
	v_mul_lo_u32 v52, v32, s41
	v_mad_u64_u32 v[58:59], s[8:9], v32, s40, 0
	v_add3_u32 v59, v59, v52, v47
	v_lshlrev_b64 v[58:59], 1, v[58:59]
	v_add_co_u32_e64 v58, s[16:17], v37, v58
	v_cmp_le_i64_e64 s[8:9], v[14:15], v[32:33]
	v_addc_co_u32_e64 v59, s[16:17], v38, v59, s[16:17]
	s_or_b64 s[16:17], s[8:9], s[10:11]
	s_or_b64 s[16:17], s[16:17], s[2:3]
	s_xor_b64 s[16:17], s[16:17], -1
	v_mov_b32_e32 v47, 0
	v_mov_b32_e32 v52, 0
	s_and_saveexec_b64 s[58:59], s[16:17]
	s_cbranch_execz .LBB9_32
; %bb.31:                               ;   in Loop: Header=BB9_9 Depth=2
	v_mad_u64_u32 v[60:61], s[16:17], v22, s42, 0
	v_add3_u32 v61, v61, v53, v51
	v_lshlrev_b64 v[52:53], 1, v[60:61]
	v_add_co_u32_e64 v52, s[16:17], v58, v52
	v_addc_co_u32_e64 v53, s[16:17], v59, v53, s[16:17]
	global_load_ushort v52, v[52:53], off
.LBB9_32:                               ;   in Loop: Header=BB9_9 Depth=2
	s_or_b64 exec, exec, s[58:59]
	s_or_b64 s[16:17], s[8:9], s[12:13]
	s_or_b64 s[16:17], s[16:17], s[2:3]
	s_xor_b64 s[16:17], s[16:17], -1
	s_and_saveexec_b64 s[58:59], s[16:17]
	s_cbranch_execz .LBB9_34
; %bb.33:                               ;   in Loop: Header=BB9_9 Depth=2
	v_mad_u64_u32 v[60:61], s[16:17], v24, s42, 0
	v_add3_u32 v61, v61, v55, v54
	v_lshlrev_b64 v[54:55], 1, v[60:61]
	v_add_co_u32_e64 v54, s[16:17], v58, v54
	v_addc_co_u32_e64 v55, s[16:17], v59, v55, s[16:17]
	global_load_ushort v47, v[54:55], off
.LBB9_34:                               ;   in Loop: Header=BB9_9 Depth=2
	s_or_b64 exec, exec, s[58:59]
	s_or_b64 s[16:17], s[8:9], s[14:15]
	s_or_b64 s[16:17], s[16:17], s[2:3]
	s_xor_b64 s[16:17], s[16:17], -1
	v_mov_b32_e32 v51, 0
	s_and_saveexec_b64 s[58:59], s[16:17]
	s_cbranch_execz .LBB9_36
; %bb.35:                               ;   in Loop: Header=BB9_9 Depth=2
	v_mad_u64_u32 v[54:55], s[16:17], v26, s42, 0
	v_add3_u32 v55, v55, v57, v56
	v_lshlrev_b64 v[54:55], 1, v[54:55]
	v_add_co_u32_e64 v54, s[16:17], v58, v54
	v_addc_co_u32_e64 v55, s[16:17], v59, v55, s[16:17]
	global_load_ushort v51, v[54:55], off
.LBB9_36:                               ;   in Loop: Header=BB9_9 Depth=2
	s_or_b64 exec, exec, s[58:59]
	s_or_b64 s[58:59], s[2:3], s[10:11]
	v_mul_lo_u32 v53, v29, s24
	v_mul_lo_u32 v54, v28, s25
	v_mad_u64_u32 v[28:29], s[16:17], v28, s24, 0
	s_or_b64 s[10:11], vcc, s[58:59]
	v_add3_u32 v29, v29, v54, v53
	s_xor_b64 s[10:11], s[10:11], -1
	s_and_saveexec_b64 s[60:61], s[10:11]
	s_cbranch_execz .LBB9_39
; %bb.37:                               ;   in Loop: Header=BB9_9 Depth=2
	ds_read_u16 v53, v39
	s_waitcnt vmcnt(0)
	v_cmp_u_f16_e64 s[16:17], v48, v48
	s_waitcnt lgkmcnt(0)
	v_cmp_lt_f16_e64 s[10:11], v53, v48
	s_or_b64 s[10:11], s[10:11], s[16:17]
	s_and_b64 exec, exec, s[10:11]
	s_cbranch_execz .LBB9_39
; %bb.38:                               ;   in Loop: Header=BB9_9 Depth=2
	v_add_co_u32_e64 v54, s[10:11], v28, v22
	v_addc_co_u32_e64 v55, s[10:11], v29, v23, s[10:11]
	ds_write_b16 v39, v48
	ds_write_b64 v40, v[54:55]
.LBB9_39:                               ;   in Loop: Header=BB9_9 Depth=2
	s_or_b64 exec, exec, s[60:61]
	s_or_b64 s[16:17], s[2:3], s[12:13]
	s_or_b64 s[10:11], vcc, s[16:17]
	s_xor_b64 s[10:11], s[10:11], -1
	s_and_saveexec_b64 s[60:61], s[10:11]
	s_cbranch_execz .LBB9_42
; %bb.40:                               ;   in Loop: Header=BB9_9 Depth=2
	s_waitcnt vmcnt(0)
	ds_read_u16 v48, v39
	v_cmp_u_f16_e64 s[12:13], v44, v44
	s_waitcnt lgkmcnt(0)
	v_cmp_lt_f16_e64 s[10:11], v48, v44
	s_or_b64 s[10:11], s[10:11], s[12:13]
	s_and_b64 exec, exec, s[10:11]
	s_cbranch_execz .LBB9_42
; %bb.41:                               ;   in Loop: Header=BB9_9 Depth=2
	v_add_co_u32_e64 v54, s[10:11], v28, v24
	v_addc_co_u32_e64 v55, s[10:11], v29, v25, s[10:11]
	ds_write_b16 v39, v44
	ds_write_b64 v40, v[54:55]
.LBB9_42:                               ;   in Loop: Header=BB9_9 Depth=2
	s_or_b64 exec, exec, s[60:61]
	s_or_b64 s[12:13], s[2:3], s[14:15]
	s_or_b64 s[10:11], vcc, s[12:13]
	s_xor_b64 s[10:11], s[10:11], -1
	s_and_saveexec_b64 s[14:15], s[10:11]
	s_cbranch_execz .LBB9_45
; %bb.43:                               ;   in Loop: Header=BB9_9 Depth=2
	s_waitcnt vmcnt(0)
	ds_read_u16 v44, v39
	v_cmp_u_f16_e64 s[10:11], v49, v49
	s_waitcnt lgkmcnt(0)
	v_cmp_lt_f16_e32 vcc, v44, v49
	s_or_b64 s[10:11], vcc, s[10:11]
	s_and_b64 exec, exec, s[10:11]
	s_cbranch_execz .LBB9_45
; %bb.44:                               ;   in Loop: Header=BB9_9 Depth=2
	v_add_co_u32_e32 v28, vcc, v28, v26
	v_addc_co_u32_e32 v29, vcc, v29, v27, vcc
	ds_write_b16 v39, v49
	ds_write_b64 v40, v[28:29]
.LBB9_45:                               ;   in Loop: Header=BB9_9 Depth=2
	s_or_b64 exec, exec, s[14:15]
	v_mad_u64_u32 v[28:29], s[10:11], v30, s24, 0
	v_mul_lo_u32 v31, v31, s24
	s_waitcnt vmcnt(0)
	v_mul_lo_u32 v44, v30, s25
	s_or_b64 s[10:11], s[6:7], s[58:59]
	v_add3_u32 v29, v29, v44, v31
	s_xor_b64 s[10:11], s[10:11], -1
	s_and_saveexec_b64 s[14:15], s[10:11]
	s_cbranch_execz .LBB9_48
; %bb.46:                               ;   in Loop: Header=BB9_9 Depth=2
	ds_read_u16 v30, v39
	v_cmp_u_f16_e64 s[10:11], v45, v45
	s_waitcnt lgkmcnt(0)
	v_cmp_lt_f16_e32 vcc, v30, v45
	s_or_b64 s[10:11], vcc, s[10:11]
	s_and_b64 exec, exec, s[10:11]
	s_cbranch_execz .LBB9_48
; %bb.47:                               ;   in Loop: Header=BB9_9 Depth=2
	v_add_co_u32_e32 v30, vcc, v28, v22
	v_addc_co_u32_e32 v31, vcc, v29, v23, vcc
	ds_write_b16 v39, v45
	ds_write_b64 v40, v[30:31]
.LBB9_48:                               ;   in Loop: Header=BB9_9 Depth=2
	s_or_b64 exec, exec, s[14:15]
	s_or_b64 s[10:11], s[6:7], s[16:17]
	s_xor_b64 s[10:11], s[10:11], -1
	s_and_saveexec_b64 s[14:15], s[10:11]
	s_cbranch_execz .LBB9_51
; %bb.49:                               ;   in Loop: Header=BB9_9 Depth=2
	ds_read_u16 v30, v39
	v_cmp_u_f16_e64 s[10:11], v50, v50
	s_waitcnt lgkmcnt(0)
	v_cmp_lt_f16_e32 vcc, v30, v50
	s_or_b64 s[10:11], vcc, s[10:11]
	s_and_b64 exec, exec, s[10:11]
	s_cbranch_execz .LBB9_51
; %bb.50:                               ;   in Loop: Header=BB9_9 Depth=2
	v_add_co_u32_e32 v30, vcc, v28, v24
	v_addc_co_u32_e32 v31, vcc, v29, v25, vcc
	ds_write_b16 v39, v50
	ds_write_b64 v40, v[30:31]
.LBB9_51:                               ;   in Loop: Header=BB9_9 Depth=2
	s_or_b64 exec, exec, s[14:15]
	s_or_b64 s[6:7], s[6:7], s[12:13]
	s_xor_b64 s[6:7], s[6:7], -1
	s_and_saveexec_b64 s[10:11], s[6:7]
	s_cbranch_execz .LBB9_54
; %bb.52:                               ;   in Loop: Header=BB9_9 Depth=2
	ds_read_u16 v30, v39
	v_cmp_u_f16_e64 s[6:7], v46, v46
	s_waitcnt lgkmcnt(0)
	v_cmp_lt_f16_e32 vcc, v30, v46
	s_or_b64 s[6:7], vcc, s[6:7]
	s_and_b64 exec, exec, s[6:7]
	s_cbranch_execz .LBB9_54
; %bb.53:                               ;   in Loop: Header=BB9_9 Depth=2
	v_add_co_u32_e32 v28, vcc, v28, v26
	v_addc_co_u32_e32 v29, vcc, v29, v27, vcc
	ds_write_b16 v39, v46
	ds_write_b64 v40, v[28:29]
.LBB9_54:                               ;   in Loop: Header=BB9_9 Depth=2
	s_or_b64 exec, exec, s[10:11]
	v_mad_u64_u32 v[28:29], s[6:7], v32, s24, 0
	v_mul_lo_u32 v30, v33, s24
	v_mul_lo_u32 v31, v32, s25
	s_or_b64 s[6:7], s[8:9], s[58:59]
	v_add3_u32 v29, v29, v31, v30
	s_xor_b64 s[6:7], s[6:7], -1
	s_and_saveexec_b64 s[10:11], s[6:7]
	s_cbranch_execz .LBB9_57
; %bb.55:                               ;   in Loop: Header=BB9_9 Depth=2
	ds_read_u16 v30, v39
	v_cmp_u_f16_e64 s[6:7], v52, v52
	s_waitcnt lgkmcnt(0)
	v_cmp_lt_f16_e32 vcc, v30, v52
	s_or_b64 s[6:7], vcc, s[6:7]
	s_and_b64 exec, exec, s[6:7]
	s_cbranch_execz .LBB9_57
; %bb.56:                               ;   in Loop: Header=BB9_9 Depth=2
	v_add_co_u32_e32 v22, vcc, v28, v22
	v_addc_co_u32_e32 v23, vcc, v29, v23, vcc
	ds_write_b16 v39, v52
	ds_write_b64 v40, v[22:23]
.LBB9_57:                               ;   in Loop: Header=BB9_9 Depth=2
	s_or_b64 exec, exec, s[10:11]
	s_or_b64 s[6:7], s[8:9], s[16:17]
	s_xor_b64 s[6:7], s[6:7], -1
	s_and_saveexec_b64 s[10:11], s[6:7]
	s_cbranch_execz .LBB9_60
; %bb.58:                               ;   in Loop: Header=BB9_9 Depth=2
	ds_read_u16 v22, v39
	v_cmp_u_f16_e64 s[6:7], v47, v47
	s_waitcnt lgkmcnt(0)
	v_cmp_lt_f16_e32 vcc, v22, v47
	s_or_b64 s[6:7], vcc, s[6:7]
	s_and_b64 exec, exec, s[6:7]
	s_cbranch_execz .LBB9_60
; %bb.59:                               ;   in Loop: Header=BB9_9 Depth=2
	v_add_co_u32_e32 v22, vcc, v28, v24
	v_addc_co_u32_e32 v23, vcc, v29, v25, vcc
	ds_write_b16 v39, v47
	ds_write_b64 v40, v[22:23]
.LBB9_60:                               ;   in Loop: Header=BB9_9 Depth=2
	s_or_b64 exec, exec, s[10:11]
	s_or_b64 s[6:7], s[8:9], s[12:13]
	s_xor_b64 s[6:7], s[6:7], -1
	s_and_saveexec_b64 s[8:9], s[6:7]
	s_cbranch_execz .LBB9_63
; %bb.61:                               ;   in Loop: Header=BB9_9 Depth=2
	ds_read_u16 v22, v39
	v_cmp_u_f16_e64 s[6:7], v51, v51
	s_waitcnt lgkmcnt(0)
	v_cmp_lt_f16_e32 vcc, v22, v51
	s_or_b64 s[6:7], vcc, s[6:7]
	s_and_b64 exec, exec, s[6:7]
	s_cbranch_execz .LBB9_63
; %bb.62:                               ;   in Loop: Header=BB9_9 Depth=2
	v_add_co_u32_e32 v22, vcc, v28, v26
	v_addc_co_u32_e32 v23, vcc, v29, v27, vcc
	ds_write_b16 v39, v51
	ds_write_b64 v40, v[22:23]
.LBB9_63:                               ;   in Loop: Header=BB9_9 Depth=2
	s_or_b64 exec, exec, s[8:9]
	s_branch .LBB9_17
.LBB9_64:                               ;   in Loop: Header=BB9_9 Depth=2
	v_cmp_lt_i64_e32 vcc, v[12:13], v[14:15]
	s_and_saveexec_b64 s[10:11], vcc
	s_cbranch_execz .LBB9_75
; %bb.65:                               ;   in Loop: Header=BB9_9 Depth=2
	v_cmp_lt_i64_e32 vcc, v[18:19], v[20:21]
	s_mov_b64 s[12:13], 0
	v_pk_mov_b32 v[22:23], v[12:13], v[12:13] op_sel:[0,1]
	s_branch .LBB9_67
.LBB9_66:                               ;   in Loop: Header=BB9_67 Depth=3
	s_or_b64 exec, exec, s[14:15]
	v_mov_b32_e32 v24, s31
	v_add_co_u32_e64 v22, s[6:7], s30, v22
	v_addc_co_u32_e64 v23, s[6:7], v23, v24, s[6:7]
	v_cmp_ge_i64_e64 s[6:7], v[22:23], v[14:15]
	s_or_b64 s[12:13], s[6:7], s[12:13]
	s_andn2_b64 exec, exec, s[12:13]
	s_cbranch_execz .LBB9_75
.LBB9_67:                               ;   Parent Loop BB9_6 Depth=1
                                        ;     Parent Loop BB9_9 Depth=2
                                        ; =>    This Loop Header: Depth=3
                                        ;         Child Loop BB9_70 Depth 4
                                        ;           Child Loop BB9_73 Depth 5
	s_and_saveexec_b64 s[14:15], vcc
	s_cbranch_execz .LBB9_66
; %bb.68:                               ;   in Loop: Header=BB9_67 Depth=3
	v_mul_lo_u32 v26, v23, s40
	v_mul_lo_u32 v27, v22, s41
	v_mad_u64_u32 v[24:25], s[6:7], v22, s40, 0
	v_add3_u32 v25, v25, v27, v26
	v_lshlrev_b64 v[24:25], 1, v[24:25]
	v_mov_b32_e32 v26, s64
	v_add_co_u32_e64 v44, s[6:7], s63, v24
	v_addc_co_u32_e64 v45, s[6:7], v26, v25, s[6:7]
	v_mul_lo_u32 v26, v23, s24
	v_mul_lo_u32 v27, v22, s25
	v_mad_u64_u32 v[24:25], s[6:7], v22, s24, 0
	v_add3_u32 v25, v25, v27, v26
	s_mov_b64 s[16:17], 0
	v_pk_mov_b32 v[26:27], v[18:19], v[18:19] op_sel:[0,1]
	s_branch .LBB9_70
.LBB9_69:                               ;   in Loop: Header=BB9_70 Depth=4
	s_or_b64 exec, exec, s[58:59]
	v_mov_b32_e32 v28, s73
	v_add_co_u32_e64 v26, s[6:7], s74, v26
	v_addc_co_u32_e64 v27, s[6:7], v27, v28, s[6:7]
	v_cmp_ge_i64_e64 s[6:7], v[26:27], v[20:21]
	s_or_b64 s[16:17], s[6:7], s[16:17]
	s_andn2_b64 exec, exec, s[16:17]
	s_cbranch_execz .LBB9_66
.LBB9_70:                               ;   Parent Loop BB9_6 Depth=1
                                        ;     Parent Loop BB9_9 Depth=2
                                        ;       Parent Loop BB9_67 Depth=3
                                        ; =>      This Loop Header: Depth=4
                                        ;           Child Loop BB9_73 Depth 5
	s_and_saveexec_b64 s[58:59], s[4:5]
	s_cbranch_execz .LBB9_69
; %bb.71:                               ;   in Loop: Header=BB9_70 Depth=4
	v_mul_lo_u32 v30, v27, s42
	v_mul_lo_u32 v31, v26, s43
	v_mad_u64_u32 v[28:29], s[6:7], v26, s42, 0
	v_add3_u32 v29, v29, v31, v30
	v_lshlrev_b64 v[28:29], 1, v[28:29]
	v_add_co_u32_e64 v46, s[6:7], v44, v28
	v_addc_co_u32_e64 v47, s[6:7], v45, v29, s[6:7]
	v_add_co_u32_e64 v28, s[6:7], v26, v24
	v_addc_co_u32_e64 v29, s[6:7], v27, v25, s[6:7]
	s_mov_b64 s[60:61], 0
	v_mov_b32_e32 v48, v42
	v_mov_b32_e32 v49, v41
	v_pk_mov_b32 v[30:31], v[2:3], v[2:3] op_sel:[0,1]
	v_pk_mov_b32 v[32:33], v[0:1], v[0:1] op_sel:[0,1]
	s_branch .LBB9_73
.LBB9_72:                               ;   in Loop: Header=BB9_73 Depth=5
	s_or_b64 exec, exec, s[6:7]
	v_mov_b32_e32 v50, s19
	v_add_co_u32_e64 v32, s[6:7], s18, v32
	v_addc_co_u32_e64 v33, s[6:7], v33, v50, s[6:7]
	v_mov_b32_e32 v50, s77
	v_add_co_u32_e64 v30, s[6:7], s78, v30
	v_addc_co_u32_e64 v31, s[6:7], v31, v50, s[6:7]
	v_cmp_le_i64_e64 s[6:7], s[20:21], v[32:33]
	v_add_u32_e32 v49, s79, v49
	s_or_b64 s[60:61], s[6:7], s[60:61]
	v_add_u32_e32 v48, s80, v48
	s_andn2_b64 exec, exec, s[60:61]
	s_cbranch_execz .LBB9_69
.LBB9_73:                               ;   Parent Loop BB9_6 Depth=1
                                        ;     Parent Loop BB9_9 Depth=2
                                        ;       Parent Loop BB9_67 Depth=3
                                        ;         Parent Loop BB9_70 Depth=4
                                        ; =>        This Inner Loop Header: Depth=5
	v_lshlrev_b64 v[50:51], 1, v[30:31]
	v_add_co_u32_e64 v50, s[6:7], v46, v50
	v_addc_co_u32_e64 v51, s[6:7], v47, v51, s[6:7]
	global_load_ushort v50, v[50:51], off
	ds_read_u16 v51, v49
	s_waitcnt vmcnt(0) lgkmcnt(0)
	v_cmp_lt_f16_e64 s[6:7], v51, v50
	v_cmp_u_f16_e64 s[8:9], v50, v50
	s_or_b64 s[8:9], s[6:7], s[8:9]
	s_and_saveexec_b64 s[6:7], s[8:9]
	s_cbranch_execz .LBB9_72
; %bb.74:                               ;   in Loop: Header=BB9_73 Depth=5
	ds_write_b16 v49, v50
	ds_write_b64 v48, v[28:29]
	s_branch .LBB9_72
.LBB9_75:                               ;   in Loop: Header=BB9_9 Depth=2
	s_or_b64 exec, exec, s[10:11]
	s_and_saveexec_b64 s[6:7], s[4:5]
	s_cbranch_execz .LBB9_8
.LBB9_76:                               ;   in Loop: Header=BB9_9 Depth=2
	v_add_co_u32_e32 v20, vcc, v10, v16
	v_addc_co_u32_e32 v21, vcc, v11, v9, vcc
	v_lshlrev_b64 v[18:19], 3, v[20:21]
	v_mov_b32_e32 v9, s27
	v_add_co_u32_e32 v18, vcc, s26, v18
	v_addc_co_u32_e32 v9, vcc, v9, v19, vcc
	v_mul_lo_u32 v9, s20, v9
	v_mul_lo_u32 v22, s21, v18
	v_mad_u64_u32 v[18:19], s[8:9], s20, v18, v[4:5]
	v_lshlrev_b64 v[20:21], 1, v[20:21]
	v_add3_u32 v19, v22, v19, v9
	v_mov_b32_e32 v9, s49
	v_add_co_u32_e32 v20, vcc, s48, v20
	v_addc_co_u32_e32 v9, vcc, v9, v21, vcc
	v_mul_lo_u32 v9, s20, v9
	v_mul_lo_u32 v22, s21, v20
	v_mad_u64_u32 v[20:21], s[8:9], s20, v20, v[6:7]
	v_add3_u32 v21, v22, v21, v9
	s_mov_b64 s[8:9], 0
	v_mov_b32_e32 v24, v42
	v_mov_b32_e32 v25, v41
	v_pk_mov_b32 v[22:23], v[0:1], v[0:1] op_sel:[0,1]
.LBB9_77:                               ;   Parent Loop BB9_6 Depth=1
                                        ;     Parent Loop BB9_9 Depth=2
                                        ; =>    This Inner Loop Header: Depth=3
	ds_read_u16 v28, v25
	ds_read_b64 v[26:27], v24
	v_mov_b32_e32 v29, s19
	v_add_co_u32_e32 v22, vcc, s18, v22
	v_addc_co_u32_e32 v23, vcc, v23, v29, vcc
	v_mov_b32_e32 v9, v8
	v_cmp_le_i64_e32 vcc, s[20:21], v[22:23]
	ds_write_b16 v25, v43
	v_mov_b32_e32 v30, s39
	ds_write_b64 v24, v[8:9]
	s_or_b64 s[8:9], vcc, s[8:9]
	s_waitcnt lgkmcnt(3)
	global_store_short v[20:21], v28, off
	s_waitcnt lgkmcnt(2)
	global_store_dwordx2 v[18:19], v[26:27], off
	v_add_co_u32_e32 v18, vcc, s38, v18
	v_addc_co_u32_e32 v19, vcc, v19, v30, vcc
	v_mov_b32_e32 v31, s53
	v_add_co_u32_e32 v20, vcc, s52, v20
	v_add_u32_e32 v25, s79, v25
	v_add_u32_e32 v24, s80, v24
	v_addc_co_u32_e32 v21, vcc, v21, v31, vcc
	s_andn2_b64 exec, exec, s[8:9]
	s_cbranch_execnz .LBB9_77
	s_branch .LBB9_8
.LBB9_78:
	s_endpgm
	.section	.rodata,"a",@progbits
	.p2align	6, 0x0
	.amdhsa_kernel _ZN2at6native12_GLOBAL__N_121max_pool_forward_nhwcIN3c104HalfElEEvPKT_iT0_S8_S8_S8_S8_iiiiiiiiS8_S8_S8_S8_iiPS5_Pl
		.amdhsa_group_segment_fixed_size 0
		.amdhsa_private_segment_fixed_size 0
		.amdhsa_kernarg_size 400
		.amdhsa_user_sgpr_count 6
		.amdhsa_user_sgpr_private_segment_buffer 1
		.amdhsa_user_sgpr_dispatch_ptr 0
		.amdhsa_user_sgpr_queue_ptr 0
		.amdhsa_user_sgpr_kernarg_segment_ptr 1
		.amdhsa_user_sgpr_dispatch_id 0
		.amdhsa_user_sgpr_flat_scratch_init 0
		.amdhsa_user_sgpr_kernarg_preload_length 0
		.amdhsa_user_sgpr_kernarg_preload_offset 0
		.amdhsa_user_sgpr_private_segment_size 0
		.amdhsa_uses_dynamic_stack 0
		.amdhsa_system_sgpr_private_segment_wavefront_offset 0
		.amdhsa_system_sgpr_workgroup_id_x 1
		.amdhsa_system_sgpr_workgroup_id_y 1
		.amdhsa_system_sgpr_workgroup_id_z 1
		.amdhsa_system_sgpr_workgroup_info 0
		.amdhsa_system_vgpr_workitem_id 2
		.amdhsa_next_free_vgpr 62
		.amdhsa_next_free_sgpr 81
		.amdhsa_accum_offset 64
		.amdhsa_reserve_vcc 1
		.amdhsa_reserve_flat_scratch 0
		.amdhsa_float_round_mode_32 0
		.amdhsa_float_round_mode_16_64 0
		.amdhsa_float_denorm_mode_32 3
		.amdhsa_float_denorm_mode_16_64 3
		.amdhsa_dx10_clamp 1
		.amdhsa_ieee_mode 1
		.amdhsa_fp16_overflow 0
		.amdhsa_tg_split 0
		.amdhsa_exception_fp_ieee_invalid_op 0
		.amdhsa_exception_fp_denorm_src 0
		.amdhsa_exception_fp_ieee_div_zero 0
		.amdhsa_exception_fp_ieee_overflow 0
		.amdhsa_exception_fp_ieee_underflow 0
		.amdhsa_exception_fp_ieee_inexact 0
		.amdhsa_exception_int_div_zero 0
	.end_amdhsa_kernel
	.section	.text._ZN2at6native12_GLOBAL__N_121max_pool_forward_nhwcIN3c104HalfElEEvPKT_iT0_S8_S8_S8_S8_iiiiiiiiS8_S8_S8_S8_iiPS5_Pl,"axG",@progbits,_ZN2at6native12_GLOBAL__N_121max_pool_forward_nhwcIN3c104HalfElEEvPKT_iT0_S8_S8_S8_S8_iiiiiiiiS8_S8_S8_S8_iiPS5_Pl,comdat
.Lfunc_end9:
	.size	_ZN2at6native12_GLOBAL__N_121max_pool_forward_nhwcIN3c104HalfElEEvPKT_iT0_S8_S8_S8_S8_iiiiiiiiS8_S8_S8_S8_iiPS5_Pl, .Lfunc_end9-_ZN2at6native12_GLOBAL__N_121max_pool_forward_nhwcIN3c104HalfElEEvPKT_iT0_S8_S8_S8_S8_iiiiiiiiS8_S8_S8_S8_iiPS5_Pl
                                        ; -- End function
	.section	.AMDGPU.csdata,"",@progbits
; Kernel info:
; codeLenInByte = 4928
; NumSgprs: 85
; NumVgprs: 62
; NumAgprs: 0
; TotalNumVgprs: 62
; ScratchSize: 0
; MemoryBound: 0
; FloatMode: 240
; IeeeMode: 1
; LDSByteSize: 0 bytes/workgroup (compile time only)
; SGPRBlocks: 10
; VGPRBlocks: 7
; NumSGPRsForWavesPerEU: 85
; NumVGPRsForWavesPerEU: 62
; AccumOffset: 64
; Occupancy: 8
; WaveLimiterHint : 1
; COMPUTE_PGM_RSRC2:SCRATCH_EN: 0
; COMPUTE_PGM_RSRC2:USER_SGPR: 6
; COMPUTE_PGM_RSRC2:TRAP_HANDLER: 0
; COMPUTE_PGM_RSRC2:TGID_X_EN: 1
; COMPUTE_PGM_RSRC2:TGID_Y_EN: 1
; COMPUTE_PGM_RSRC2:TGID_Z_EN: 1
; COMPUTE_PGM_RSRC2:TIDIG_COMP_CNT: 2
; COMPUTE_PGM_RSRC3_GFX90A:ACCUM_OFFSET: 15
; COMPUTE_PGM_RSRC3_GFX90A:TG_SPLIT: 0
	.section	.text._ZN2at6native12_GLOBAL__N_121max_pool_forward_nchwIN3c104HalfEiEEvT0_PKT_llliiiiiiiiiiPS6_Pl,"axG",@progbits,_ZN2at6native12_GLOBAL__N_121max_pool_forward_nchwIN3c104HalfEiEEvT0_PKT_llliiiiiiiiiiPS6_Pl,comdat
	.globl	_ZN2at6native12_GLOBAL__N_121max_pool_forward_nchwIN3c104HalfEiEEvT0_PKT_llliiiiiiiiiiPS6_Pl ; -- Begin function _ZN2at6native12_GLOBAL__N_121max_pool_forward_nchwIN3c104HalfEiEEvT0_PKT_llliiiiiiiiiiPS6_Pl
	.p2align	8
	.type	_ZN2at6native12_GLOBAL__N_121max_pool_forward_nchwIN3c104HalfEiEEvT0_PKT_llliiiiiiiiiiPS6_Pl,@function
_ZN2at6native12_GLOBAL__N_121max_pool_forward_nchwIN3c104HalfEiEEvT0_PKT_llliiiiiiiiiiPS6_Pl: ; @_ZN2at6native12_GLOBAL__N_121max_pool_forward_nchwIN3c104HalfEiEEvT0_PKT_llliiiiiiiiiiPS6_Pl
; %bb.0:
	s_load_dword s28, s[4:5], 0x0
	s_load_dword s2, s[4:5], 0x6c
	v_mov_b32_e32 v2, 0
	v_mov_b32_e32 v1, v2
	;; [unrolled: 1-line block ×3, first 2 shown]
	s_waitcnt lgkmcnt(0)
	s_ashr_i32 s29, s28, 31
	s_add_u32 s0, s4, 0x60
	s_addc_u32 s1, s5, 0
	s_and_b32 s2, s2, 0xffff
	v_mad_u64_u32 v[0:1], s[6:7], s2, v3, v[0:1]
	v_cmp_gt_i64_e32 vcc, s[28:29], v[0:1]
	s_and_saveexec_b64 s[6:7], vcc
	s_cbranch_execz .LBB10_15
; %bb.1:
	s_load_dwordx8 s[8:15], s[4:5], 0x28
	s_load_dwordx2 s[6:7], s[4:5], 0x48
	s_load_dwordx8 s[16:23], s[4:5], 0x8
	s_load_dwordx4 s[24:27], s[4:5], 0x50
	s_load_dword s3, s[0:1], 0x0
	s_waitcnt lgkmcnt(0)
	s_abs_i32 s48, s9
	v_cvt_f32_u32_e32 v3, s48
	s_abs_i32 s54, s8
	v_cvt_f32_u32_e32 v4, s54
	s_add_i32 s0, s10, -1
	v_rcp_iflag_f32_e32 v3, v3
	s_mul_i32 s33, s0, s6
	s_add_i32 s0, s11, -1
	v_rcp_iflag_f32_e32 v4, v4
	v_mul_f32_e32 v3, 0x4f7ffffe, v3
	v_cvt_u32_f32_e32 v3, v3
	s_mul_i32 s49, s0, s7
	s_sub_i32 s0, 0, s48
	s_max_u32 s52, s6, 1
	v_mul_lo_u32 v5, s0, v3
	v_mul_hi_u32 v5, v3, v5
	v_add_u32_e32 v9, v3, v5
	v_mul_f32_e32 v3, 0x4f7ffffe, v4
	v_cvt_f32_u32_e32 v4, s52
	s_max_u32 s53, s7, 1
	v_cvt_f32_u32_e32 v6, s53
	v_cvt_u32_f32_e32 v3, v3
	v_rcp_iflag_f32_e32 v4, v4
	s_sub_i32 s0, 0, s54
	v_rcp_iflag_f32_e32 v6, v6
	v_mul_lo_u32 v5, s0, v3
	v_mul_f32_e32 v4, 0x4f7ffffe, v4
	v_mul_hi_u32 v5, v3, v5
	v_cvt_u32_f32_e32 v4, v4
	v_add_u32_e32 v12, v3, v5
	v_mul_f32_e32 v5, 0x4f7ffffe, v6
	v_cvt_u32_f32_e32 v5, v5
	s_sub_i32 s0, 0, s52
	v_mul_lo_u32 v3, s0, v4
	v_mul_hi_u32 v3, v4, v3
	s_sub_i32 s0, 0, s53
	v_add_u32_e32 v13, v4, v3
	v_mul_lo_u32 v3, s0, v5
	s_mul_i32 s0, s22, s21
	s_mul_hi_u32 s1, s22, s20
	s_add_i32 s0, s1, s0
	s_mul_i32 s1, s23, s20
	s_add_i32 s1, s0, s1
	s_mul_i32 s0, s22, s20
	s_lshl_b64 s[10:11], s[0:1], 1
	s_ashr_i32 s0, s6, 31
	s_mul_hi_u32 s1, s22, s6
	s_mul_i32 s0, s22, s0
	s_add_i32 s0, s1, s0
	s_mul_i32 s1, s23, s6
	v_mul_hi_u32 v3, v5, v3
	s_add_i32 s31, s0, s1
	s_mul_i32 s30, s6, s22
	s_ashr_i32 s1, s7, 31
	s_mov_b32 s0, s7
	s_add_i32 s33, s33, 1
	s_add_i32 s49, s49, 1
	s_mul_i32 s50, s3, s2
	s_mov_b32 s51, 0
	s_ashr_i32 s55, s9, 31
	s_ashr_i32 s56, s8, 31
	v_add_u32_e32 v14, v5, v3
	s_sub_i32 s21, 0, s14
	s_sub_i32 s57, 0, s15
	s_lshl_b64 s[34:35], s[30:31], 1
	s_lshl_b64 s[36:37], s[0:1], 1
	s_mov_b64 s[38:39], 0
	s_branch .LBB10_4
.LBB10_2:                               ;   in Loop: Header=BB10_4 Depth=1
	s_or_b64 exec, exec, s[42:43]
.LBB10_3:                               ;   in Loop: Header=BB10_4 Depth=1
	s_or_b64 exec, exec, s[40:41]
	v_ashrrev_i32_e32 v5, 31, v0
	v_mov_b32_e32 v4, v0
	v_lshlrev_b64 v[10:11], 1, v[4:5]
	v_mov_b32_e32 v3, s25
	v_add_co_u32_e32 v10, vcc, s24, v10
	v_addc_co_u32_e32 v11, vcc, v3, v11, vcc
	v_lshlrev_b64 v[4:5], 3, v[4:5]
	v_mov_b32_e32 v3, s27
	v_add_co_u32_e32 v4, vcc, s26, v4
	v_addc_co_u32_e32 v5, vcc, v3, v5, vcc
	v_mov_b32_e32 v3, s51
	v_add_co_u32_e32 v0, vcc, s50, v0
	v_addc_co_u32_e32 v1, vcc, v1, v3, vcc
	v_cmp_le_i64_e32 vcc, s[28:29], v[0:1]
	v_ashrrev_i32_e32 v7, 31, v6
	s_or_b64 s[38:39], vcc, s[38:39]
	global_store_short v[10:11], v16, off
	global_store_dwordx2 v[4:5], v[6:7], off
	s_andn2_b64 exec, exec, s[38:39]
	s_cbranch_execz .LBB10_15
.LBB10_4:                               ; =>This Loop Header: Depth=1
                                        ;     Child Loop BB10_11 Depth 2
                                        ;       Child Loop BB10_13 Depth 3
	v_sub_u32_e32 v4, 0, v0
	v_max_i32_e32 v4, v0, v4
	v_mul_hi_u32 v5, v4, v9
	v_mul_lo_u32 v6, v5, s48
	v_sub_u32_e32 v4, v4, v6
	v_add_u32_e32 v6, 1, v5
	v_cmp_le_u32_e32 vcc, s48, v4
	v_cndmask_b32_e32 v5, v5, v6, vcc
	v_subrev_u32_e32 v6, s48, v4
	v_cndmask_b32_e32 v4, v4, v6, vcc
	v_ashrrev_i32_e32 v3, 31, v0
	v_add_u32_e32 v6, 1, v5
	v_cmp_le_u32_e32 vcc, s48, v4
	v_xor_b32_e32 v3, s55, v3
	v_cndmask_b32_e32 v4, v5, v6, vcc
	v_xor_b32_e32 v4, v4, v3
	v_sub_u32_e32 v6, v4, v3
	v_sub_u32_e32 v4, 0, v6
	v_max_i32_e32 v4, v6, v4
	v_mul_hi_u32 v5, v4, v12
	v_mul_lo_u32 v7, v5, s54
	v_sub_u32_e32 v4, v4, v7
	v_add_u32_e32 v7, 1, v5
	v_cmp_le_u32_e32 vcc, s54, v4
	v_cndmask_b32_e32 v5, v5, v7, vcc
	v_subrev_u32_e32 v7, s54, v4
	v_cndmask_b32_e32 v4, v4, v7, vcc
	v_ashrrev_i32_e32 v3, 31, v6
	v_add_u32_e32 v7, 1, v5
	v_cmp_le_u32_e32 vcc, s54, v4
	v_xor_b32_e32 v3, s56, v3
	v_cndmask_b32_e32 v4, v5, v7, vcc
	v_xor_b32_e32 v4, v4, v3
	v_sub_u32_e32 v4, v4, v3
	v_ashrrev_i32_e32 v5, 31, v4
	v_or_b32_e32 v3, s19, v5
	v_cmp_ne_u64_e32 vcc, 0, v[2:3]
                                        ; implicit-def: $vgpr10_vgpr11
	s_and_saveexec_b64 s[0:1], vcc
	s_xor_b64 s[2:3], exec, s[0:1]
	s_cbranch_execz .LBB10_6
; %bb.5:                                ;   in Loop: Header=BB10_4 Depth=1
	s_ashr_i32 s4, s19, 31
	s_add_u32 s0, s18, s4
	s_mov_b32 s5, s4
	s_addc_u32 s1, s19, s4
	s_xor_b64 s[40:41], s[0:1], s[4:5]
	v_cvt_f32_u32_e32 v3, s40
	v_cvt_f32_u32_e32 v7, s41
	s_sub_u32 s0, 0, s40
	s_subb_u32 s1, 0, s41
	v_mac_f32_e32 v3, 0x4f800000, v7
	v_rcp_f32_e32 v3, v3
	v_mul_f32_e32 v3, 0x5f7ffffc, v3
	v_mul_f32_e32 v7, 0x2f800000, v3
	v_trunc_f32_e32 v7, v7
	v_mac_f32_e32 v3, 0xcf800000, v7
	v_cvt_u32_f32_e32 v7, v7
	v_cvt_u32_f32_e32 v3, v3
	v_mul_lo_u32 v8, s0, v7
	v_mul_hi_u32 v11, s0, v3
	v_mul_lo_u32 v10, s1, v3
	v_add_u32_e32 v8, v11, v8
	v_mul_lo_u32 v15, s0, v3
	v_add_u32_e32 v8, v8, v10
	v_mul_lo_u32 v11, v3, v8
	v_mul_hi_u32 v16, v3, v15
	v_mul_hi_u32 v10, v3, v8
	v_add_co_u32_e32 v11, vcc, v16, v11
	v_addc_co_u32_e32 v10, vcc, 0, v10, vcc
	v_mul_hi_u32 v17, v7, v15
	v_mul_lo_u32 v15, v7, v15
	v_add_co_u32_e32 v11, vcc, v11, v15
	v_mul_hi_u32 v16, v7, v8
	v_addc_co_u32_e32 v10, vcc, v10, v17, vcc
	v_addc_co_u32_e32 v11, vcc, 0, v16, vcc
	v_mul_lo_u32 v8, v7, v8
	v_add_co_u32_e32 v8, vcc, v10, v8
	v_addc_co_u32_e32 v10, vcc, 0, v11, vcc
	v_add_co_u32_e32 v3, vcc, v3, v8
	v_addc_co_u32_e32 v7, vcc, v7, v10, vcc
	v_mul_lo_u32 v8, s0, v7
	v_mul_hi_u32 v10, s0, v3
	v_add_u32_e32 v8, v10, v8
	v_mul_lo_u32 v10, s1, v3
	v_add_u32_e32 v8, v8, v10
	v_mul_lo_u32 v11, s0, v3
	v_mul_hi_u32 v15, v7, v11
	v_mul_lo_u32 v16, v7, v11
	v_mul_lo_u32 v18, v3, v8
	v_mul_hi_u32 v11, v3, v11
	v_mul_hi_u32 v17, v3, v8
	v_add_co_u32_e32 v11, vcc, v11, v18
	v_addc_co_u32_e32 v17, vcc, 0, v17, vcc
	v_add_co_u32_e32 v11, vcc, v11, v16
	v_mul_hi_u32 v10, v7, v8
	v_addc_co_u32_e32 v11, vcc, v17, v15, vcc
	v_addc_co_u32_e32 v10, vcc, 0, v10, vcc
	v_mul_lo_u32 v8, v7, v8
	v_add_co_u32_e32 v8, vcc, v11, v8
	v_addc_co_u32_e32 v10, vcc, 0, v10, vcc
	v_add_co_u32_e32 v15, vcc, v3, v8
	v_addc_co_u32_e32 v7, vcc, v7, v10, vcc
	v_mov_b32_e32 v8, v5
	v_mov_b32_e32 v3, v5
	v_add_co_u32_e32 v10, vcc, v4, v8
	v_addc_co_u32_e32 v11, vcc, v5, v3, vcc
	v_xor_b32_e32 v19, v10, v8
	v_xor_b32_e32 v18, v11, v3
	v_mad_u64_u32 v[10:11], s[0:1], v19, v7, 0
	v_mul_hi_u32 v16, v19, v15
	v_add_co_u32_e32 v20, vcc, v16, v10
	v_addc_co_u32_e32 v21, vcc, 0, v11, vcc
	v_mad_u64_u32 v[16:17], s[0:1], v18, v15, 0
	v_mad_u64_u32 v[10:11], s[0:1], v18, v7, 0
	v_add_co_u32_e32 v7, vcc, v20, v16
	v_addc_co_u32_e32 v7, vcc, v21, v17, vcc
	v_addc_co_u32_e32 v11, vcc, 0, v11, vcc
	v_add_co_u32_e32 v7, vcc, v7, v10
	v_addc_co_u32_e32 v15, vcc, 0, v11, vcc
	v_mul_lo_u32 v16, s41, v7
	v_mul_lo_u32 v17, s40, v15
	v_mad_u64_u32 v[10:11], s[0:1], s40, v7, 0
	v_add3_u32 v11, v11, v17, v16
	v_sub_u32_e32 v16, v18, v11
	v_mov_b32_e32 v17, s41
	v_sub_co_u32_e32 v10, vcc, v19, v10
	v_subb_co_u32_e64 v16, s[0:1], v16, v17, vcc
	v_subrev_co_u32_e64 v17, s[0:1], s40, v10
	v_subbrev_co_u32_e64 v16, s[0:1], 0, v16, s[0:1]
	v_cmp_le_u32_e64 s[0:1], s41, v16
	v_cndmask_b32_e64 v19, 0, -1, s[0:1]
	v_cmp_le_u32_e64 s[0:1], s40, v17
	v_cndmask_b32_e64 v17, 0, -1, s[0:1]
	v_cmp_eq_u32_e64 s[0:1], s41, v16
	v_cndmask_b32_e64 v16, v19, v17, s[0:1]
	v_add_co_u32_e64 v17, s[0:1], 2, v7
	v_subb_co_u32_e32 v11, vcc, v18, v11, vcc
	v_addc_co_u32_e64 v19, s[0:1], 0, v15, s[0:1]
	v_cmp_le_u32_e32 vcc, s41, v11
	v_add_co_u32_e64 v20, s[0:1], 1, v7
	v_cndmask_b32_e64 v18, 0, -1, vcc
	v_cmp_le_u32_e32 vcc, s40, v10
	v_addc_co_u32_e64 v21, s[0:1], 0, v15, s[0:1]
	v_cndmask_b32_e64 v10, 0, -1, vcc
	v_cmp_eq_u32_e32 vcc, s41, v11
	v_cmp_ne_u32_e64 s[0:1], 0, v16
	v_cndmask_b32_e32 v10, v18, v10, vcc
	v_cmp_ne_u32_e32 vcc, 0, v10
	v_cndmask_b32_e64 v11, v20, v17, s[0:1]
	v_cndmask_b32_e64 v16, v21, v19, s[0:1]
	v_cndmask_b32_e32 v7, v7, v11, vcc
	v_xor_b32_e32 v8, s4, v8
	v_cndmask_b32_e32 v10, v15, v16, vcc
	v_xor_b32_e32 v3, s4, v3
	v_xor_b32_e32 v7, v7, v8
	;; [unrolled: 1-line block ×3, first 2 shown]
	v_sub_co_u32_e32 v10, vcc, v7, v8
	v_subb_co_u32_e32 v11, vcc, v11, v3, vcc
.LBB10_6:                               ;   in Loop: Header=BB10_4 Depth=1
	s_andn2_saveexec_b64 s[0:1], s[2:3]
	s_cbranch_execz .LBB10_8
; %bb.7:                                ;   in Loop: Header=BB10_4 Depth=1
	v_cvt_f32_u32_e32 v3, s18
	s_sub_i32 s2, 0, s18
	v_mov_b32_e32 v11, v2
	v_rcp_iflag_f32_e32 v3, v3
	v_mul_f32_e32 v3, 0x4f7ffffe, v3
	v_cvt_u32_f32_e32 v3, v3
	v_mul_lo_u32 v7, s2, v3
	v_mul_hi_u32 v7, v3, v7
	v_add_u32_e32 v3, v3, v7
	v_mul_hi_u32 v3, v4, v3
	v_mul_lo_u32 v7, v3, s18
	v_sub_u32_e32 v7, v4, v7
	v_add_u32_e32 v8, 1, v3
	v_subrev_u32_e32 v10, s18, v7
	v_cmp_le_u32_e32 vcc, s18, v7
	v_cndmask_b32_e32 v7, v7, v10, vcc
	v_cndmask_b32_e32 v3, v3, v8, vcc
	v_add_u32_e32 v8, 1, v3
	v_cmp_le_u32_e32 vcc, s18, v7
	v_cndmask_b32_e32 v10, v3, v8, vcc
.LBB10_8:                               ;   in Loop: Header=BB10_4 Depth=1
	s_or_b64 exec, exec, s[0:1]
	v_mul_lo_u32 v7, v4, s8
	v_mul_lo_u32 v3, v6, s9
	v_sub_u32_e32 v6, v6, v7
	v_mul_lo_u32 v17, v6, s12
	v_sub_u32_e32 v3, v0, v3
	v_subrev_u32_e32 v6, s14, v17
	v_mul_lo_u32 v18, v3, s13
	v_max_i32_e32 v3, 0, v6
	v_add_u32_e32 v3, s14, v3
	v_cmp_ne_u32_e32 vcc, v3, v17
	v_cndmask_b32_e64 v8, 0, 1, vcc
	v_add_u32_e32 v8, v17, v8
	v_sub_u32_e32 v3, v3, v8
	v_mul_hi_u32 v8, v3, v13
	v_mul_lo_u32 v15, v8, s52
	v_sub_u32_e32 v3, v3, v15
	v_add_u32_e32 v15, 1, v8
	v_cmp_le_u32_e64 s[0:1], s52, v3
	v_cndmask_b32_e64 v8, v8, v15, s[0:1]
	v_subrev_u32_e32 v15, s52, v3
	v_cndmask_b32_e64 v3, v3, v15, s[0:1]
	v_add_u32_e32 v15, 1, v8
	v_cmp_le_u32_e64 s[0:1], s52, v3
	v_cndmask_b32_e64 v3, v8, v15, s[0:1]
	v_addc_co_u32_e32 v3, vcc, 0, v3, vcc
	v_subrev_u32_e32 v19, s15, v18
	v_mul_lo_u32 v20, v3, s6
	v_add_u32_e32 v7, s33, v6
	v_add_u32_e32 v3, v6, v20
	v_max_i32_e32 v6, 0, v19
	v_add_u32_e32 v6, s15, v6
	v_cmp_ne_u32_e32 vcc, v6, v18
	v_cndmask_b32_e64 v8, 0, 1, vcc
	v_add_u32_e32 v8, v18, v8
	v_sub_u32_e32 v6, v6, v8
	v_mul_hi_u32 v8, v6, v14
	v_mul_lo_u32 v15, v8, s53
	v_sub_u32_e32 v6, v6, v15
	v_add_u32_e32 v15, 1, v8
	v_cmp_le_u32_e64 s[0:1], s53, v6
	v_cndmask_b32_e64 v8, v8, v15, s[0:1]
	v_subrev_u32_e32 v15, s53, v6
	v_cndmask_b32_e64 v6, v6, v15, s[0:1]
	v_add_u32_e32 v15, 1, v8
	v_cmp_le_u32_e64 s[0:1], s53, v6
	v_cndmask_b32_e64 v6, v8, v15, s[0:1]
	v_addc_co_u32_e32 v6, vcc, 0, v6, vcc
	v_mul_lo_u32 v21, v6, s7
	v_min_i32_e32 v15, s20, v7
	v_add_u32_e32 v8, v19, v21
	v_mad_u64_u32 v[6:7], s[0:1], v3, s22, v[8:9]
	v_cmp_lt_i32_e32 vcc, v3, v15
	v_mov_b32_e32 v16, 0xfffffc00
	s_and_saveexec_b64 s[40:41], vcc
	s_cbranch_execz .LBB10_3
; %bb.9:                                ;   in Loop: Header=BB10_4 Depth=1
	v_mul_lo_u32 v7, v11, s18
	v_mul_lo_u32 v11, v10, s19
	v_mad_u64_u32 v[22:23], s[0:1], v10, s18, 0
	v_add3_u32 v7, v23, v11, v7
	v_sub_co_u32_e32 v4, vcc, v4, v22
	v_subb_co_u32_e32 v5, vcc, v5, v7, vcc
	v_ashrrev_i32_e32 v16, 31, v10
	v_mad_u64_u32 v[4:5], s[0:1], v10, s18, v[4:5]
	v_mul_lo_u32 v10, v16, s18
	v_add3_u32 v5, v10, v5, v11
	v_add3_u32 v16, s21, v17, v20
	;; [unrolled: 1-line block ×3, first 2 shown]
	v_ashrrev_i32_e32 v17, 31, v16
	v_ashrrev_i32_e32 v11, 31, v10
	v_mul_lo_u32 v17, s22, v17
	v_mad_u64_u32 v[10:11], s[0:1], s22, v16, v[10:11]
	v_mul_lo_u32 v18, s23, v16
	v_add3_u32 v11, v18, v11, v17
	v_lshlrev_b64 v[10:11], 1, v[10:11]
	v_add_u32_e32 v7, s49, v19
	v_mad_u64_u32 v[10:11], s[0:1], s10, v4, v[10:11]
	v_mul_lo_u32 v4, s11, v4
	v_mul_lo_u32 v5, s10, v5
	v_min_i32_e32 v7, s22, v7
	v_add3_u32 v5, v4, v11, v5
	v_mov_b32_e32 v11, s17
	v_add_co_u32_e64 v4, s[0:1], s16, v10
	v_cmp_lt_i32_e32 vcc, v8, v7
	v_addc_co_u32_e64 v5, s[0:1], v11, v5, s[0:1]
	v_mul_lo_u32 v17, s22, v16
	s_mov_b64 s[42:43], 0
	v_mov_b32_e32 v16, 0xfffffc00
	s_branch .LBB10_11
.LBB10_10:                              ;   in Loop: Header=BB10_11 Depth=2
	s_or_b64 exec, exec, s[44:45]
	v_mov_b32_e32 v10, s35
	v_add_co_u32_e64 v4, s[0:1], s34, v4
	v_add_u32_e32 v3, s6, v3
	v_addc_co_u32_e64 v5, s[0:1], v5, v10, s[0:1]
	v_cmp_ge_i32_e64 s[0:1], v3, v15
	s_or_b64 s[42:43], s[0:1], s[42:43]
	v_add_u32_e32 v17, s30, v17
	s_andn2_b64 exec, exec, s[42:43]
	s_cbranch_execz .LBB10_2
.LBB10_11:                              ;   Parent Loop BB10_4 Depth=1
                                        ; =>  This Loop Header: Depth=2
                                        ;       Child Loop BB10_13 Depth 3
	s_and_saveexec_b64 s[44:45], vcc
	s_cbranch_execz .LBB10_10
; %bb.12:                               ;   in Loop: Header=BB10_11 Depth=2
	s_mov_b64 s[46:47], 0
	v_pk_mov_b32 v[10:11], v[4:5], v[4:5] op_sel:[0,1]
	v_mov_b32_e32 v18, v8
.LBB10_13:                              ;   Parent Loop BB10_4 Depth=1
                                        ;     Parent Loop BB10_11 Depth=2
                                        ; =>    This Inner Loop Header: Depth=3
	global_load_ushort v19, v[10:11], off
	v_mov_b32_e32 v21, s37
	v_add_co_u32_e64 v10, s[0:1], s36, v10
	v_add_u32_e32 v20, v17, v18
	v_add_u32_e32 v18, s7, v18
	v_addc_co_u32_e64 v11, s[0:1], v11, v21, s[0:1]
	v_cmp_ge_i32_e64 s[0:1], v18, v7
	s_waitcnt vmcnt(0)
	v_cmp_gt_f16_e64 s[2:3], v19, v16
	v_cmp_u_f16_e64 s[4:5], v19, v19
	s_or_b64 s[2:3], s[2:3], s[4:5]
	v_cndmask_b32_e64 v16, v16, v19, s[2:3]
	s_or_b64 s[46:47], s[0:1], s[46:47]
	v_cndmask_b32_e64 v6, v6, v20, s[2:3]
	s_andn2_b64 exec, exec, s[46:47]
	s_cbranch_execnz .LBB10_13
; %bb.14:                               ;   in Loop: Header=BB10_11 Depth=2
	s_or_b64 exec, exec, s[46:47]
	s_branch .LBB10_10
.LBB10_15:
	s_endpgm
	.section	.rodata,"a",@progbits
	.p2align	6, 0x0
	.amdhsa_kernel _ZN2at6native12_GLOBAL__N_121max_pool_forward_nchwIN3c104HalfEiEEvT0_PKT_llliiiiiiiiiiPS6_Pl
		.amdhsa_group_segment_fixed_size 0
		.amdhsa_private_segment_fixed_size 0
		.amdhsa_kernarg_size 352
		.amdhsa_user_sgpr_count 6
		.amdhsa_user_sgpr_private_segment_buffer 1
		.amdhsa_user_sgpr_dispatch_ptr 0
		.amdhsa_user_sgpr_queue_ptr 0
		.amdhsa_user_sgpr_kernarg_segment_ptr 1
		.amdhsa_user_sgpr_dispatch_id 0
		.amdhsa_user_sgpr_flat_scratch_init 0
		.amdhsa_user_sgpr_kernarg_preload_length 0
		.amdhsa_user_sgpr_kernarg_preload_offset 0
		.amdhsa_user_sgpr_private_segment_size 0
		.amdhsa_uses_dynamic_stack 0
		.amdhsa_system_sgpr_private_segment_wavefront_offset 0
		.amdhsa_system_sgpr_workgroup_id_x 1
		.amdhsa_system_sgpr_workgroup_id_y 0
		.amdhsa_system_sgpr_workgroup_id_z 0
		.amdhsa_system_sgpr_workgroup_info 0
		.amdhsa_system_vgpr_workitem_id 0
		.amdhsa_next_free_vgpr 24
		.amdhsa_next_free_sgpr 58
		.amdhsa_accum_offset 24
		.amdhsa_reserve_vcc 1
		.amdhsa_reserve_flat_scratch 0
		.amdhsa_float_round_mode_32 0
		.amdhsa_float_round_mode_16_64 0
		.amdhsa_float_denorm_mode_32 3
		.amdhsa_float_denorm_mode_16_64 3
		.amdhsa_dx10_clamp 1
		.amdhsa_ieee_mode 1
		.amdhsa_fp16_overflow 0
		.amdhsa_tg_split 0
		.amdhsa_exception_fp_ieee_invalid_op 0
		.amdhsa_exception_fp_denorm_src 0
		.amdhsa_exception_fp_ieee_div_zero 0
		.amdhsa_exception_fp_ieee_overflow 0
		.amdhsa_exception_fp_ieee_underflow 0
		.amdhsa_exception_fp_ieee_inexact 0
		.amdhsa_exception_int_div_zero 0
	.end_amdhsa_kernel
	.section	.text._ZN2at6native12_GLOBAL__N_121max_pool_forward_nchwIN3c104HalfEiEEvT0_PKT_llliiiiiiiiiiPS6_Pl,"axG",@progbits,_ZN2at6native12_GLOBAL__N_121max_pool_forward_nchwIN3c104HalfEiEEvT0_PKT_llliiiiiiiiiiPS6_Pl,comdat
.Lfunc_end10:
	.size	_ZN2at6native12_GLOBAL__N_121max_pool_forward_nchwIN3c104HalfEiEEvT0_PKT_llliiiiiiiiiiPS6_Pl, .Lfunc_end10-_ZN2at6native12_GLOBAL__N_121max_pool_forward_nchwIN3c104HalfEiEEvT0_PKT_llliiiiiiiiiiPS6_Pl
                                        ; -- End function
	.section	.AMDGPU.csdata,"",@progbits
; Kernel info:
; codeLenInByte = 2228
; NumSgprs: 62
; NumVgprs: 24
; NumAgprs: 0
; TotalNumVgprs: 24
; ScratchSize: 0
; MemoryBound: 0
; FloatMode: 240
; IeeeMode: 1
; LDSByteSize: 0 bytes/workgroup (compile time only)
; SGPRBlocks: 7
; VGPRBlocks: 2
; NumSGPRsForWavesPerEU: 62
; NumVGPRsForWavesPerEU: 24
; AccumOffset: 24
; Occupancy: 8
; WaveLimiterHint : 0
; COMPUTE_PGM_RSRC2:SCRATCH_EN: 0
; COMPUTE_PGM_RSRC2:USER_SGPR: 6
; COMPUTE_PGM_RSRC2:TRAP_HANDLER: 0
; COMPUTE_PGM_RSRC2:TGID_X_EN: 1
; COMPUTE_PGM_RSRC2:TGID_Y_EN: 0
; COMPUTE_PGM_RSRC2:TGID_Z_EN: 0
; COMPUTE_PGM_RSRC2:TIDIG_COMP_CNT: 0
; COMPUTE_PGM_RSRC3_GFX90A:ACCUM_OFFSET: 5
; COMPUTE_PGM_RSRC3_GFX90A:TG_SPLIT: 0
	.section	.text._ZN2at6native12_GLOBAL__N_121max_pool_forward_nchwIN3c104HalfElEEvT0_PKT_llliiiiiiiiiiPS6_Pl,"axG",@progbits,_ZN2at6native12_GLOBAL__N_121max_pool_forward_nchwIN3c104HalfElEEvT0_PKT_llliiiiiiiiiiPS6_Pl,comdat
	.globl	_ZN2at6native12_GLOBAL__N_121max_pool_forward_nchwIN3c104HalfElEEvT0_PKT_llliiiiiiiiiiPS6_Pl ; -- Begin function _ZN2at6native12_GLOBAL__N_121max_pool_forward_nchwIN3c104HalfElEEvT0_PKT_llliiiiiiiiiiPS6_Pl
	.p2align	8
	.type	_ZN2at6native12_GLOBAL__N_121max_pool_forward_nchwIN3c104HalfElEEvT0_PKT_llliiiiiiiiiiPS6_Pl,@function
_ZN2at6native12_GLOBAL__N_121max_pool_forward_nchwIN3c104HalfElEEvT0_PKT_llliiiiiiiiiiPS6_Pl: ; @_ZN2at6native12_GLOBAL__N_121max_pool_forward_nchwIN3c104HalfElEEvT0_PKT_llliiiiiiiiiiPS6_Pl
; %bb.0:
	s_load_dword s2, s[4:5], 0x6c
	s_load_dwordx4 s[16:19], s[4:5], 0x0
	s_add_u32 s0, s4, 0x60
	v_mov_b32_e32 v2, 0
	s_addc_u32 s1, s5, 0
	s_waitcnt lgkmcnt(0)
	s_and_b32 s2, s2, 0xffff
	v_mov_b32_e32 v1, v2
	v_mov_b32_e32 v3, s6
	v_mad_u64_u32 v[0:1], s[6:7], s2, v3, v[0:1]
	v_cmp_gt_i64_e32 vcc, s[16:17], v[0:1]
	s_and_saveexec_b64 s[6:7], vcc
	s_cbranch_execz .LBB11_27
; %bb.1:
	s_load_dwordx8 s[8:15], s[4:5], 0x28
	s_load_dwordx4 s[20:23], s[4:5], 0x18
	s_load_dwordx2 s[6:7], s[4:5], 0x48
	s_load_dwordx4 s[24:27], s[4:5], 0x50
	s_load_dword s3, s[0:1], 0x0
	s_waitcnt lgkmcnt(0)
	v_cvt_f32_u32_e32 v3, s9
	s_add_i32 s0, s10, -1
	s_mul_i32 s51, s0, s6
	s_add_i32 s0, s11, -1
	s_mul_i32 s52, s0, s7
	s_ashr_i32 s11, s6, 31
	s_mov_b32 s10, s6
	v_rcp_iflag_f32_e32 v3, v3
	s_ashr_i32 s33, s9, 31
	s_ashr_i32 s42, s8, 31
	;; [unrolled: 1-line block ×5, first 2 shown]
	s_mov_b32 s48, s13
	s_ashr_i32 s49, s15, 31
	s_add_i32 s51, s51, 1
	s_add_i32 s52, s52, 1
	s_ashr_i32 s13, s7, 31
	v_cmp_gt_u64_e64 s[0:1], s[10:11], 1
	s_mov_b32 s44, s12
	s_mov_b32 s12, s7
	s_and_b64 s[0:1], s[0:1], exec
	v_cmp_gt_u64_e64 s[0:1], s[12:13], 1
	s_cselect_b32 s55, s11, 0
	s_cselect_b32 s56, s6, 1
	s_and_b64 s[0:1], s[0:1], exec
	v_mul_f32_e32 v3, 0x4f7ffffe, v3
	s_mul_i32 s0, s22, s21
	s_mul_hi_u32 s1, s22, s20
	v_cvt_u32_f32_e32 v18, v3
	s_cselect_b32 s57, s13, 0
	s_cselect_b32 s58, s7, 1
	s_add_i32 s0, s1, s0
	s_mul_i32 s1, s23, s20
	s_add_i32 s1, s0, s1
	s_mul_i32 s0, s22, s20
	s_mov_b32 s46, s14
	s_mov_b32 s50, s15
	s_mul_i32 s53, s3, s2
	s_mov_b32 s54, 0
	s_lshl_b64 s[14:15], s[0:1], 1
	s_lshl_b64 s[28:29], s[12:13], 1
	s_mov_b64 s[30:31], 0
	s_branch .LBB11_4
.LBB11_2:                               ;   in Loop: Header=BB11_4 Depth=1
	s_or_b64 exec, exec, s[36:37]
.LBB11_3:                               ;   in Loop: Header=BB11_4 Depth=1
	s_or_b64 exec, exec, s[34:35]
	v_lshlrev_b64 v[4:5], 1, v[0:1]
	v_mov_b32_e32 v3, s25
	v_add_co_u32_e32 v4, vcc, s24, v4
	v_addc_co_u32_e32 v5, vcc, v3, v5, vcc
	global_store_short v[4:5], v16, off
	v_lshlrev_b64 v[4:5], 3, v[0:1]
	v_mov_b32_e32 v3, s27
	v_add_co_u32_e32 v4, vcc, s26, v4
	v_addc_co_u32_e32 v5, vcc, v3, v5, vcc
	v_mov_b32_e32 v3, s54
	v_add_co_u32_e32 v0, vcc, s53, v0
	v_addc_co_u32_e32 v1, vcc, v1, v3, vcc
	v_cmp_le_i64_e32 vcc, s[16:17], v[0:1]
	s_or_b64 s[30:31], vcc, s[30:31]
	global_store_dwordx2 v[4:5], v[8:9], off
	s_andn2_b64 exec, exec, s[30:31]
	s_cbranch_execz .LBB11_27
.LBB11_4:                               ; =>This Loop Header: Depth=1
                                        ;     Child Loop BB11_23 Depth 2
                                        ;       Child Loop BB11_25 Depth 3
	v_or_b32_e32 v3, s33, v1
	v_cmp_ne_u64_e32 vcc, 0, v[2:3]
                                        ; implicit-def: $vgpr6_vgpr7
	s_and_saveexec_b64 s[0:1], vcc
	s_xor_b64 s[2:3], exec, s[0:1]
	s_cbranch_execz .LBB11_6
; %bb.5:                                ;   in Loop: Header=BB11_4 Depth=1
	s_add_u32 s0, s9, s33
	s_mov_b32 s4, s33
	s_mov_b32 s5, s33
	s_addc_u32 s1, s33, s33
	s_xor_b64 s[34:35], s[0:1], s[4:5]
	v_cvt_f32_u32_e32 v3, s34
	v_cvt_f32_u32_e32 v4, s35
	s_sub_u32 s0, 0, s34
	s_subb_u32 s1, 0, s35
	v_mac_f32_e32 v3, 0x4f800000, v4
	v_rcp_f32_e32 v3, v3
	v_mul_f32_e32 v3, 0x5f7ffffc, v3
	v_mul_f32_e32 v4, 0x2f800000, v3
	v_trunc_f32_e32 v4, v4
	v_mac_f32_e32 v3, 0xcf800000, v4
	v_cvt_u32_f32_e32 v4, v4
	v_cvt_u32_f32_e32 v3, v3
	v_mul_lo_u32 v5, s0, v4
	v_mul_hi_u32 v7, s0, v3
	v_mul_lo_u32 v6, s1, v3
	v_add_u32_e32 v5, v7, v5
	v_mul_lo_u32 v8, s0, v3
	v_add_u32_e32 v5, v5, v6
	v_mul_lo_u32 v7, v3, v5
	v_mul_hi_u32 v9, v3, v8
	v_mul_hi_u32 v6, v3, v5
	v_add_co_u32_e32 v7, vcc, v9, v7
	v_addc_co_u32_e32 v6, vcc, 0, v6, vcc
	v_mul_hi_u32 v10, v4, v8
	v_mul_lo_u32 v8, v4, v8
	v_add_co_u32_e32 v7, vcc, v7, v8
	v_mul_hi_u32 v9, v4, v5
	v_addc_co_u32_e32 v6, vcc, v6, v10, vcc
	v_addc_co_u32_e32 v7, vcc, 0, v9, vcc
	v_mul_lo_u32 v5, v4, v5
	v_add_co_u32_e32 v5, vcc, v6, v5
	v_addc_co_u32_e32 v6, vcc, 0, v7, vcc
	v_add_co_u32_e32 v3, vcc, v3, v5
	v_addc_co_u32_e32 v4, vcc, v4, v6, vcc
	v_mul_lo_u32 v5, s0, v4
	v_mul_hi_u32 v6, s0, v3
	v_add_u32_e32 v5, v6, v5
	v_mul_lo_u32 v6, s1, v3
	v_add_u32_e32 v5, v5, v6
	v_mul_lo_u32 v7, s0, v3
	v_mul_hi_u32 v8, v4, v7
	v_mul_lo_u32 v9, v4, v7
	v_mul_lo_u32 v11, v3, v5
	v_mul_hi_u32 v7, v3, v7
	v_mul_hi_u32 v10, v3, v5
	v_add_co_u32_e32 v7, vcc, v7, v11
	v_addc_co_u32_e32 v10, vcc, 0, v10, vcc
	v_add_co_u32_e32 v7, vcc, v7, v9
	v_mul_hi_u32 v6, v4, v5
	v_addc_co_u32_e32 v7, vcc, v10, v8, vcc
	v_addc_co_u32_e32 v6, vcc, 0, v6, vcc
	v_mul_lo_u32 v5, v4, v5
	v_add_co_u32_e32 v5, vcc, v7, v5
	v_addc_co_u32_e32 v6, vcc, 0, v6, vcc
	v_add_co_u32_e32 v3, vcc, v3, v5
	v_addc_co_u32_e32 v6, vcc, v4, v6, vcc
	v_ashrrev_i32_e32 v8, 31, v1
	v_add_co_u32_e32 v4, vcc, v0, v8
	v_addc_co_u32_e32 v5, vcc, v1, v8, vcc
	v_xor_b32_e32 v10, v4, v8
	v_xor_b32_e32 v9, v5, v8
	v_mad_u64_u32 v[4:5], s[0:1], v10, v6, 0
	v_mul_hi_u32 v7, v10, v3
	v_add_co_u32_e32 v11, vcc, v7, v4
	v_addc_co_u32_e32 v12, vcc, 0, v5, vcc
	v_mad_u64_u32 v[4:5], s[0:1], v9, v6, 0
	v_mad_u64_u32 v[6:7], s[0:1], v9, v3, 0
	v_add_co_u32_e32 v3, vcc, v11, v6
	v_addc_co_u32_e32 v3, vcc, v12, v7, vcc
	v_addc_co_u32_e32 v5, vcc, 0, v5, vcc
	v_add_co_u32_e32 v3, vcc, v3, v4
	v_addc_co_u32_e32 v6, vcc, 0, v5, vcc
	v_mul_lo_u32 v7, s35, v3
	v_mul_lo_u32 v11, s34, v6
	v_mad_u64_u32 v[4:5], s[0:1], s34, v3, 0
	v_add3_u32 v5, v5, v11, v7
	v_sub_u32_e32 v7, v9, v5
	v_mov_b32_e32 v11, s35
	v_sub_co_u32_e32 v4, vcc, v10, v4
	v_subb_co_u32_e64 v7, s[0:1], v7, v11, vcc
	v_subrev_co_u32_e64 v10, s[0:1], s34, v4
	v_subbrev_co_u32_e64 v7, s[0:1], 0, v7, s[0:1]
	v_cmp_le_u32_e64 s[0:1], s35, v7
	v_cndmask_b32_e64 v11, 0, -1, s[0:1]
	v_cmp_le_u32_e64 s[0:1], s34, v10
	v_cndmask_b32_e64 v10, 0, -1, s[0:1]
	v_cmp_eq_u32_e64 s[0:1], s35, v7
	v_cndmask_b32_e64 v7, v11, v10, s[0:1]
	v_add_co_u32_e64 v10, s[0:1], 2, v3
	v_subb_co_u32_e32 v5, vcc, v9, v5, vcc
	v_addc_co_u32_e64 v11, s[0:1], 0, v6, s[0:1]
	v_cmp_le_u32_e32 vcc, s35, v5
	v_add_co_u32_e64 v12, s[0:1], 1, v3
	v_cndmask_b32_e64 v9, 0, -1, vcc
	v_cmp_le_u32_e32 vcc, s34, v4
	v_addc_co_u32_e64 v13, s[0:1], 0, v6, s[0:1]
	v_cndmask_b32_e64 v4, 0, -1, vcc
	v_cmp_eq_u32_e32 vcc, s35, v5
	v_cmp_ne_u32_e64 s[0:1], 0, v7
	v_cndmask_b32_e32 v4, v9, v4, vcc
	v_cndmask_b32_e64 v7, v13, v11, s[0:1]
	v_cmp_ne_u32_e32 vcc, 0, v4
	v_cndmask_b32_e64 v5, v12, v10, s[0:1]
	v_cndmask_b32_e32 v4, v6, v7, vcc
	v_cndmask_b32_e32 v3, v3, v5, vcc
	v_xor_b32_e32 v6, s4, v8
	v_xor_b32_e32 v5, s5, v8
	;; [unrolled: 1-line block ×4, first 2 shown]
	v_sub_co_u32_e32 v6, vcc, v3, v6
	v_subb_co_u32_e32 v7, vcc, v4, v5, vcc
.LBB11_6:                               ;   in Loop: Header=BB11_4 Depth=1
	s_andn2_saveexec_b64 s[0:1], s[2:3]
	s_cbranch_execz .LBB11_8
; %bb.7:                                ;   in Loop: Header=BB11_4 Depth=1
	s_sub_i32 s2, 0, s9
	v_mul_lo_u32 v3, s2, v18
	v_mul_hi_u32 v3, v18, v3
	v_add_u32_e32 v3, v18, v3
	v_mul_hi_u32 v3, v0, v3
	v_mul_lo_u32 v4, v3, s9
	v_sub_u32_e32 v4, v0, v4
	v_subrev_u32_e32 v5, s9, v4
	v_cmp_le_u32_e32 vcc, s9, v4
	v_cndmask_b32_e32 v4, v4, v5, vcc
	v_add_u32_e32 v5, 1, v3
	v_cndmask_b32_e32 v3, v3, v5, vcc
	v_add_u32_e32 v5, 1, v3
	v_cmp_le_u32_e32 vcc, s9, v4
	v_cndmask_b32_e32 v6, v3, v5, vcc
	v_mov_b32_e32 v7, v2
.LBB11_8:                               ;   in Loop: Header=BB11_4 Depth=1
	s_or_b64 exec, exec, s[0:1]
	v_or_b32_e32 v3, s42, v7
	v_cmp_ne_u64_e32 vcc, 0, v[2:3]
                                        ; implicit-def: $vgpr4_vgpr5
	s_and_saveexec_b64 s[0:1], vcc
	s_xor_b64 s[2:3], exec, s[0:1]
	s_cbranch_execz .LBB11_10
; %bb.9:                                ;   in Loop: Header=BB11_4 Depth=1
	s_add_u32 s0, s8, s42
	s_mov_b32 s4, s42
	s_mov_b32 s5, s42
	s_addc_u32 s1, s42, s42
	s_xor_b64 s[34:35], s[0:1], s[4:5]
	v_cvt_f32_u32_e32 v3, s34
	v_cvt_f32_u32_e32 v4, s35
	s_sub_u32 s0, 0, s34
	s_subb_u32 s1, 0, s35
	v_mac_f32_e32 v3, 0x4f800000, v4
	v_rcp_f32_e32 v3, v3
	v_mul_f32_e32 v3, 0x5f7ffffc, v3
	v_mul_f32_e32 v4, 0x2f800000, v3
	v_trunc_f32_e32 v4, v4
	v_mac_f32_e32 v3, 0xcf800000, v4
	v_cvt_u32_f32_e32 v4, v4
	v_cvt_u32_f32_e32 v3, v3
	v_mul_lo_u32 v5, s0, v4
	v_mul_hi_u32 v9, s0, v3
	v_mul_lo_u32 v8, s1, v3
	v_add_u32_e32 v5, v9, v5
	v_mul_lo_u32 v10, s0, v3
	v_add_u32_e32 v5, v5, v8
	v_mul_lo_u32 v9, v3, v5
	v_mul_hi_u32 v11, v3, v10
	v_mul_hi_u32 v8, v3, v5
	v_add_co_u32_e32 v9, vcc, v11, v9
	v_addc_co_u32_e32 v8, vcc, 0, v8, vcc
	v_mul_hi_u32 v12, v4, v10
	v_mul_lo_u32 v10, v4, v10
	v_add_co_u32_e32 v9, vcc, v9, v10
	v_mul_hi_u32 v11, v4, v5
	v_addc_co_u32_e32 v8, vcc, v8, v12, vcc
	v_addc_co_u32_e32 v9, vcc, 0, v11, vcc
	v_mul_lo_u32 v5, v4, v5
	v_add_co_u32_e32 v5, vcc, v8, v5
	v_addc_co_u32_e32 v8, vcc, 0, v9, vcc
	v_add_co_u32_e32 v3, vcc, v3, v5
	v_addc_co_u32_e32 v4, vcc, v4, v8, vcc
	v_mul_lo_u32 v5, s0, v4
	v_mul_hi_u32 v8, s0, v3
	v_add_u32_e32 v5, v8, v5
	v_mul_lo_u32 v8, s1, v3
	v_add_u32_e32 v5, v5, v8
	v_mul_lo_u32 v9, s0, v3
	v_mul_hi_u32 v10, v4, v9
	v_mul_lo_u32 v11, v4, v9
	v_mul_lo_u32 v13, v3, v5
	v_mul_hi_u32 v9, v3, v9
	v_mul_hi_u32 v12, v3, v5
	v_add_co_u32_e32 v9, vcc, v9, v13
	v_addc_co_u32_e32 v12, vcc, 0, v12, vcc
	v_add_co_u32_e32 v9, vcc, v9, v11
	v_mul_hi_u32 v8, v4, v5
	v_addc_co_u32_e32 v9, vcc, v12, v10, vcc
	v_addc_co_u32_e32 v8, vcc, 0, v8, vcc
	v_mul_lo_u32 v5, v4, v5
	v_add_co_u32_e32 v5, vcc, v9, v5
	v_addc_co_u32_e32 v8, vcc, 0, v8, vcc
	v_add_co_u32_e32 v3, vcc, v3, v5
	v_addc_co_u32_e32 v8, vcc, v4, v8, vcc
	v_ashrrev_i32_e32 v10, 31, v7
	v_add_co_u32_e32 v4, vcc, v6, v10
	v_addc_co_u32_e32 v5, vcc, v7, v10, vcc
	v_xor_b32_e32 v12, v4, v10
	v_xor_b32_e32 v11, v5, v10
	v_mad_u64_u32 v[4:5], s[0:1], v12, v8, 0
	v_mul_hi_u32 v9, v12, v3
	v_add_co_u32_e32 v13, vcc, v9, v4
	v_addc_co_u32_e32 v14, vcc, 0, v5, vcc
	v_mad_u64_u32 v[4:5], s[0:1], v11, v8, 0
	v_mad_u64_u32 v[8:9], s[0:1], v11, v3, 0
	v_add_co_u32_e32 v3, vcc, v13, v8
	v_addc_co_u32_e32 v3, vcc, v14, v9, vcc
	v_addc_co_u32_e32 v5, vcc, 0, v5, vcc
	v_add_co_u32_e32 v3, vcc, v3, v4
	v_addc_co_u32_e32 v8, vcc, 0, v5, vcc
	v_mul_lo_u32 v9, s35, v3
	v_mul_lo_u32 v13, s34, v8
	v_mad_u64_u32 v[4:5], s[0:1], s34, v3, 0
	v_add3_u32 v5, v5, v13, v9
	v_sub_u32_e32 v9, v11, v5
	v_mov_b32_e32 v13, s35
	v_sub_co_u32_e32 v4, vcc, v12, v4
	v_subb_co_u32_e64 v9, s[0:1], v9, v13, vcc
	v_subrev_co_u32_e64 v12, s[0:1], s34, v4
	v_subbrev_co_u32_e64 v9, s[0:1], 0, v9, s[0:1]
	v_cmp_le_u32_e64 s[0:1], s35, v9
	v_cndmask_b32_e64 v13, 0, -1, s[0:1]
	v_cmp_le_u32_e64 s[0:1], s34, v12
	v_cndmask_b32_e64 v12, 0, -1, s[0:1]
	v_cmp_eq_u32_e64 s[0:1], s35, v9
	v_cndmask_b32_e64 v9, v13, v12, s[0:1]
	v_add_co_u32_e64 v12, s[0:1], 2, v3
	v_subb_co_u32_e32 v5, vcc, v11, v5, vcc
	v_addc_co_u32_e64 v13, s[0:1], 0, v8, s[0:1]
	v_cmp_le_u32_e32 vcc, s35, v5
	v_add_co_u32_e64 v14, s[0:1], 1, v3
	v_cndmask_b32_e64 v11, 0, -1, vcc
	v_cmp_le_u32_e32 vcc, s34, v4
	v_addc_co_u32_e64 v15, s[0:1], 0, v8, s[0:1]
	v_cndmask_b32_e64 v4, 0, -1, vcc
	v_cmp_eq_u32_e32 vcc, s35, v5
	v_cmp_ne_u32_e64 s[0:1], 0, v9
	v_cndmask_b32_e32 v4, v11, v4, vcc
	v_cndmask_b32_e64 v9, v15, v13, s[0:1]
	v_cmp_ne_u32_e32 vcc, 0, v4
	v_cndmask_b32_e64 v5, v14, v12, s[0:1]
	v_cndmask_b32_e32 v4, v8, v9, vcc
	v_cndmask_b32_e32 v3, v3, v5, vcc
	v_xor_b32_e32 v8, s4, v10
	v_xor_b32_e32 v5, s5, v10
	;; [unrolled: 1-line block ×4, first 2 shown]
	v_sub_co_u32_e32 v4, vcc, v3, v8
	v_subb_co_u32_e32 v5, vcc, v9, v5, vcc
.LBB11_10:                              ;   in Loop: Header=BB11_4 Depth=1
	s_andn2_saveexec_b64 s[0:1], s[2:3]
	s_cbranch_execz .LBB11_12
; %bb.11:                               ;   in Loop: Header=BB11_4 Depth=1
	v_cvt_f32_u32_e32 v3, s8
	s_sub_i32 s2, 0, s8
	v_rcp_iflag_f32_e32 v3, v3
	v_mul_f32_e32 v3, 0x4f7ffffe, v3
	v_cvt_u32_f32_e32 v3, v3
	v_mul_lo_u32 v4, s2, v3
	v_mul_hi_u32 v4, v3, v4
	v_add_u32_e32 v3, v3, v4
	v_mul_hi_u32 v3, v6, v3
	v_mul_lo_u32 v4, v3, s8
	v_sub_u32_e32 v4, v6, v4
	v_add_u32_e32 v5, 1, v3
	v_subrev_u32_e32 v8, s8, v4
	v_cmp_le_u32_e32 vcc, s8, v4
	v_cndmask_b32_e32 v4, v4, v8, vcc
	v_cndmask_b32_e32 v3, v3, v5, vcc
	v_add_u32_e32 v5, 1, v3
	v_cmp_le_u32_e32 vcc, s8, v4
	v_cndmask_b32_e32 v4, v3, v5, vcc
	v_mov_b32_e32 v5, v2
.LBB11_12:                              ;   in Loop: Header=BB11_4 Depth=1
	s_or_b64 exec, exec, s[0:1]
	v_mul_lo_u32 v3, v5, s8
	v_mul_lo_u32 v10, v4, s42
	v_mad_u64_u32 v[8:9], s[0:1], v4, s8, 0
	v_add3_u32 v3, v9, v10, v3
	v_sub_co_u32_e32 v14, vcc, v6, v8
	v_subb_co_u32_e32 v3, vcc, v7, v3, vcc
	v_mul_lo_u32 v3, v3, s44
	v_mul_lo_u32 v16, v14, s43
	v_mad_u64_u32 v[10:11], s[0:1], v14, s44, 0
	v_add3_u32 v11, v11, v16, v3
	v_mov_b32_e32 v13, s45
	v_subrev_co_u32_e32 v8, vcc, s46, v10
	v_subb_co_u32_e32 v9, vcc, v11, v13, vcc
	v_cmp_lt_i64_e32 vcc, 0, v[8:9]
	v_cndmask_b32_e32 v12, 0, v8, vcc
	v_cndmask_b32_e32 v15, 0, v9, vcc
	v_add_co_u32_e32 v12, vcc, s46, v12
	v_addc_co_u32_e32 v13, vcc, v15, v13, vcc
	v_cmp_ne_u64_e32 vcc, v[12:13], v[10:11]
	v_cndmask_b32_e64 v10, 0, 1, vcc
	v_mov_b32_e32 v11, s54
	v_mad_u64_u32 v[14:15], s[0:1], v14, s44, v[10:11]
	v_add3_u32 v3, v3, v15, v16
	v_sub_co_u32_e32 v11, vcc, v12, v14
	v_subb_co_u32_e32 v14, vcc, v13, v3, vcc
	v_or_b32_e32 v3, s55, v14
	v_cmp_ne_u64_e32 vcc, 0, v[2:3]
                                        ; implicit-def: $vgpr12_vgpr13
	s_and_saveexec_b64 s[0:1], vcc
	s_xor_b64 s[2:3], exec, s[0:1]
	s_cbranch_execz .LBB11_14
; %bb.13:                               ;   in Loop: Header=BB11_4 Depth=1
	v_cvt_f32_u32_e32 v3, s56
	v_cvt_f32_u32_e32 v12, s55
	s_sub_u32 s0, 0, s56
	s_subb_u32 s1, 0, s55
	v_mac_f32_e32 v3, 0x4f800000, v12
	v_rcp_f32_e32 v3, v3
	v_mul_f32_e32 v3, 0x5f7ffffc, v3
	v_mul_f32_e32 v12, 0x2f800000, v3
	v_trunc_f32_e32 v12, v12
	v_mac_f32_e32 v3, 0xcf800000, v12
	v_cvt_u32_f32_e32 v12, v12
	v_cvt_u32_f32_e32 v3, v3
	v_mul_lo_u32 v13, s0, v12
	v_mul_hi_u32 v16, s0, v3
	v_mul_lo_u32 v15, s1, v3
	v_add_u32_e32 v13, v16, v13
	v_mul_lo_u32 v17, s0, v3
	v_add_u32_e32 v13, v13, v15
	v_mul_hi_u32 v16, v3, v17
	v_mul_lo_u32 v19, v3, v13
	v_mul_hi_u32 v15, v3, v13
	v_add_co_u32_e32 v16, vcc, v16, v19
	v_addc_co_u32_e32 v15, vcc, 0, v15, vcc
	v_mul_hi_u32 v20, v12, v17
	v_mul_lo_u32 v17, v12, v17
	v_add_co_u32_e32 v16, vcc, v16, v17
	v_mul_hi_u32 v19, v12, v13
	v_addc_co_u32_e32 v15, vcc, v15, v20, vcc
	v_addc_co_u32_e32 v16, vcc, 0, v19, vcc
	v_mul_lo_u32 v13, v12, v13
	v_add_co_u32_e32 v13, vcc, v15, v13
	v_addc_co_u32_e32 v15, vcc, 0, v16, vcc
	v_add_co_u32_e32 v3, vcc, v3, v13
	v_addc_co_u32_e32 v12, vcc, v12, v15, vcc
	v_mul_lo_u32 v13, s0, v12
	v_mul_hi_u32 v15, s0, v3
	v_add_u32_e32 v13, v15, v13
	v_mul_lo_u32 v15, s1, v3
	v_add_u32_e32 v13, v13, v15
	v_mul_lo_u32 v16, s0, v3
	v_mul_hi_u32 v17, v12, v16
	v_mul_lo_u32 v19, v12, v16
	v_mul_lo_u32 v21, v3, v13
	v_mul_hi_u32 v16, v3, v16
	v_mul_hi_u32 v20, v3, v13
	v_add_co_u32_e32 v16, vcc, v16, v21
	v_addc_co_u32_e32 v20, vcc, 0, v20, vcc
	v_add_co_u32_e32 v16, vcc, v16, v19
	v_mul_hi_u32 v15, v12, v13
	v_addc_co_u32_e32 v16, vcc, v20, v17, vcc
	v_addc_co_u32_e32 v15, vcc, 0, v15, vcc
	v_mul_lo_u32 v13, v12, v13
	v_add_co_u32_e32 v13, vcc, v16, v13
	v_addc_co_u32_e32 v15, vcc, 0, v15, vcc
	v_add_co_u32_e32 v3, vcc, v3, v13
	v_addc_co_u32_e32 v15, vcc, v12, v15, vcc
	v_mad_u64_u32 v[12:13], s[0:1], v11, v15, 0
	v_mul_hi_u32 v16, v11, v3
	v_add_co_u32_e32 v19, vcc, v16, v12
	v_addc_co_u32_e32 v20, vcc, 0, v13, vcc
	v_mad_u64_u32 v[16:17], s[0:1], v14, v3, 0
	v_add_co_u32_e32 v3, vcc, v19, v16
	v_mad_u64_u32 v[12:13], s[0:1], v14, v15, 0
	v_addc_co_u32_e32 v3, vcc, v20, v17, vcc
	v_addc_co_u32_e32 v13, vcc, 0, v13, vcc
	v_add_co_u32_e32 v3, vcc, v3, v12
	v_addc_co_u32_e32 v15, vcc, 0, v13, vcc
	v_mul_lo_u32 v16, s55, v3
	v_mul_lo_u32 v17, s56, v15
	v_mad_u64_u32 v[12:13], s[0:1], s56, v3, 0
	v_add3_u32 v13, v13, v17, v16
	v_sub_u32_e32 v16, v14, v13
	v_mov_b32_e32 v17, s55
	v_sub_co_u32_e32 v11, vcc, v11, v12
	v_subb_co_u32_e64 v12, s[0:1], v16, v17, vcc
	v_subrev_co_u32_e64 v16, s[0:1], s56, v11
	v_subbrev_co_u32_e64 v12, s[0:1], 0, v12, s[0:1]
	v_cmp_le_u32_e64 s[0:1], s55, v12
	v_cndmask_b32_e64 v17, 0, -1, s[0:1]
	v_cmp_le_u32_e64 s[0:1], s56, v16
	v_cndmask_b32_e64 v16, 0, -1, s[0:1]
	v_cmp_eq_u32_e64 s[0:1], s55, v12
	v_cndmask_b32_e64 v12, v17, v16, s[0:1]
	v_add_co_u32_e64 v16, s[0:1], 2, v3
	v_subb_co_u32_e32 v13, vcc, v14, v13, vcc
	v_addc_co_u32_e64 v17, s[0:1], 0, v15, s[0:1]
	v_cmp_le_u32_e32 vcc, s55, v13
	v_add_co_u32_e64 v19, s[0:1], 1, v3
	v_cndmask_b32_e64 v14, 0, -1, vcc
	v_cmp_le_u32_e32 vcc, s56, v11
	v_addc_co_u32_e64 v20, s[0:1], 0, v15, s[0:1]
	v_cndmask_b32_e64 v11, 0, -1, vcc
	v_cmp_eq_u32_e32 vcc, s55, v13
	v_cmp_ne_u32_e64 s[0:1], 0, v12
	v_cndmask_b32_e32 v11, v14, v11, vcc
	v_cndmask_b32_e64 v12, v20, v17, s[0:1]
	v_cmp_ne_u32_e32 vcc, 0, v11
	v_cndmask_b32_e64 v11, v19, v16, s[0:1]
	v_cndmask_b32_e32 v13, v15, v12, vcc
	v_cndmask_b32_e32 v12, v3, v11, vcc
                                        ; implicit-def: $vgpr11
.LBB11_14:                              ;   in Loop: Header=BB11_4 Depth=1
	s_andn2_saveexec_b64 s[0:1], s[2:3]
	s_cbranch_execz .LBB11_16
; %bb.15:                               ;   in Loop: Header=BB11_4 Depth=1
	v_cvt_f32_u32_e32 v3, s56
	s_sub_i32 s2, 0, s56
	v_rcp_iflag_f32_e32 v3, v3
	v_mul_f32_e32 v3, 0x4f7ffffe, v3
	v_cvt_u32_f32_e32 v3, v3
	v_mul_lo_u32 v12, s2, v3
	v_mul_hi_u32 v12, v3, v12
	v_add_u32_e32 v3, v3, v12
	v_mul_hi_u32 v3, v11, v3
	v_mul_lo_u32 v12, v3, s56
	v_sub_u32_e32 v11, v11, v12
	v_add_u32_e32 v13, 1, v3
	v_subrev_u32_e32 v12, s56, v11
	v_cmp_le_u32_e32 vcc, s56, v11
	v_cndmask_b32_e32 v11, v11, v12, vcc
	v_cndmask_b32_e32 v3, v3, v13, vcc
	v_add_u32_e32 v12, 1, v3
	v_cmp_le_u32_e32 vcc, s56, v11
	v_cndmask_b32_e32 v12, v3, v12, vcc
	v_mov_b32_e32 v13, v2
.LBB11_16:                              ;   in Loop: Header=BB11_4 Depth=1
	s_or_b64 exec, exec, s[0:1]
	v_mul_lo_u32 v3, v7, s9
	v_mul_lo_u32 v11, v6, s33
	v_mad_u64_u32 v[6:7], s[0:1], v6, s9, 0
	v_add3_u32 v3, v7, v11, v3
	v_sub_co_u32_e32 v11, vcc, v0, v6
	v_subb_co_u32_e32 v3, vcc, v1, v3, vcc
	v_mul_lo_u32 v3, v3, s48
	v_mul_lo_u32 v19, v11, s47
	v_mad_u64_u32 v[14:15], s[0:1], v11, s48, 0
	v_add3_u32 v15, v15, v19, v3
	v_mov_b32_e32 v17, s49
	v_subrev_co_u32_e32 v6, vcc, s50, v14
	v_subb_co_u32_e32 v7, vcc, v15, v17, vcc
	v_cmp_lt_i64_e32 vcc, 0, v[6:7]
	v_cndmask_b32_e32 v16, 0, v6, vcc
	v_cndmask_b32_e32 v20, 0, v7, vcc
	v_add_co_u32_e32 v16, vcc, s50, v16
	v_addc_co_u32_e32 v17, vcc, v20, v17, vcc
	v_cmp_ne_u64_e32 vcc, v[16:17], v[14:15]
	v_cndmask_b32_e64 v14, 0, 1, vcc
	v_mov_b32_e32 v15, s54
	v_mad_u64_u32 v[20:21], s[0:1], v11, s48, v[14:15]
	v_add3_u32 v3, v3, v21, v19
	v_sub_co_u32_e32 v11, vcc, v16, v20
	v_subb_co_u32_e32 v15, vcc, v17, v3, vcc
	v_or_b32_e32 v3, s57, v15
	v_cmp_ne_u64_e32 vcc, 0, v[2:3]
                                        ; implicit-def: $vgpr16_vgpr17
	s_and_saveexec_b64 s[0:1], vcc
	s_xor_b64 s[2:3], exec, s[0:1]
	s_cbranch_execz .LBB11_18
; %bb.17:                               ;   in Loop: Header=BB11_4 Depth=1
	v_cvt_f32_u32_e32 v3, s58
	v_cvt_f32_u32_e32 v16, s57
	s_sub_u32 s0, 0, s58
	s_subb_u32 s1, 0, s57
	v_mac_f32_e32 v3, 0x4f800000, v16
	v_rcp_f32_e32 v3, v3
	v_mul_f32_e32 v3, 0x5f7ffffc, v3
	v_mul_f32_e32 v16, 0x2f800000, v3
	v_trunc_f32_e32 v16, v16
	v_mac_f32_e32 v3, 0xcf800000, v16
	v_cvt_u32_f32_e32 v16, v16
	v_cvt_u32_f32_e32 v3, v3
	v_mul_lo_u32 v17, s0, v16
	v_mul_hi_u32 v20, s0, v3
	v_mul_lo_u32 v19, s1, v3
	v_add_u32_e32 v17, v20, v17
	v_mul_lo_u32 v21, s0, v3
	v_add_u32_e32 v17, v17, v19
	v_mul_hi_u32 v20, v3, v21
	v_mul_lo_u32 v22, v3, v17
	v_mul_hi_u32 v19, v3, v17
	v_add_co_u32_e32 v20, vcc, v20, v22
	v_addc_co_u32_e32 v19, vcc, 0, v19, vcc
	v_mul_hi_u32 v23, v16, v21
	v_mul_lo_u32 v21, v16, v21
	v_add_co_u32_e32 v20, vcc, v20, v21
	v_mul_hi_u32 v22, v16, v17
	v_addc_co_u32_e32 v19, vcc, v19, v23, vcc
	v_addc_co_u32_e32 v20, vcc, 0, v22, vcc
	v_mul_lo_u32 v17, v16, v17
	v_add_co_u32_e32 v17, vcc, v19, v17
	v_addc_co_u32_e32 v19, vcc, 0, v20, vcc
	v_add_co_u32_e32 v3, vcc, v3, v17
	v_addc_co_u32_e32 v16, vcc, v16, v19, vcc
	v_mul_lo_u32 v17, s0, v16
	v_mul_hi_u32 v19, s0, v3
	v_add_u32_e32 v17, v19, v17
	v_mul_lo_u32 v19, s1, v3
	v_add_u32_e32 v17, v17, v19
	v_mul_lo_u32 v20, s0, v3
	v_mul_hi_u32 v21, v16, v20
	v_mul_lo_u32 v22, v16, v20
	v_mul_lo_u32 v24, v3, v17
	v_mul_hi_u32 v20, v3, v20
	v_mul_hi_u32 v23, v3, v17
	v_add_co_u32_e32 v20, vcc, v20, v24
	v_addc_co_u32_e32 v23, vcc, 0, v23, vcc
	v_add_co_u32_e32 v20, vcc, v20, v22
	v_mul_hi_u32 v19, v16, v17
	v_addc_co_u32_e32 v20, vcc, v23, v21, vcc
	v_addc_co_u32_e32 v19, vcc, 0, v19, vcc
	v_mul_lo_u32 v17, v16, v17
	v_add_co_u32_e32 v17, vcc, v20, v17
	v_addc_co_u32_e32 v19, vcc, 0, v19, vcc
	v_add_co_u32_e32 v3, vcc, v3, v17
	v_addc_co_u32_e32 v19, vcc, v16, v19, vcc
	v_mad_u64_u32 v[16:17], s[0:1], v11, v19, 0
	v_mul_hi_u32 v20, v11, v3
	v_add_co_u32_e32 v22, vcc, v20, v16
	v_addc_co_u32_e32 v23, vcc, 0, v17, vcc
	v_mad_u64_u32 v[20:21], s[0:1], v15, v3, 0
	v_add_co_u32_e32 v3, vcc, v22, v20
	v_mad_u64_u32 v[16:17], s[0:1], v15, v19, 0
	v_addc_co_u32_e32 v3, vcc, v23, v21, vcc
	v_addc_co_u32_e32 v17, vcc, 0, v17, vcc
	v_add_co_u32_e32 v3, vcc, v3, v16
	v_addc_co_u32_e32 v19, vcc, 0, v17, vcc
	v_mul_lo_u32 v20, s57, v3
	v_mul_lo_u32 v21, s58, v19
	v_mad_u64_u32 v[16:17], s[0:1], s58, v3, 0
	v_add3_u32 v17, v17, v21, v20
	v_sub_u32_e32 v20, v15, v17
	v_mov_b32_e32 v21, s57
	v_sub_co_u32_e32 v11, vcc, v11, v16
	v_subb_co_u32_e64 v16, s[0:1], v20, v21, vcc
	v_subrev_co_u32_e64 v20, s[0:1], s58, v11
	v_subbrev_co_u32_e64 v16, s[0:1], 0, v16, s[0:1]
	v_cmp_le_u32_e64 s[0:1], s57, v16
	v_cndmask_b32_e64 v21, 0, -1, s[0:1]
	v_cmp_le_u32_e64 s[0:1], s58, v20
	v_cndmask_b32_e64 v20, 0, -1, s[0:1]
	v_cmp_eq_u32_e64 s[0:1], s57, v16
	v_cndmask_b32_e64 v16, v21, v20, s[0:1]
	v_add_co_u32_e64 v20, s[0:1], 2, v3
	v_subb_co_u32_e32 v15, vcc, v15, v17, vcc
	v_addc_co_u32_e64 v21, s[0:1], 0, v19, s[0:1]
	v_cmp_le_u32_e32 vcc, s57, v15
	v_add_co_u32_e64 v22, s[0:1], 1, v3
	v_cndmask_b32_e64 v17, 0, -1, vcc
	v_cmp_le_u32_e32 vcc, s58, v11
	v_addc_co_u32_e64 v23, s[0:1], 0, v19, s[0:1]
	v_cndmask_b32_e64 v11, 0, -1, vcc
	v_cmp_eq_u32_e32 vcc, s57, v15
	v_cmp_ne_u32_e64 s[0:1], 0, v16
	v_cndmask_b32_e32 v11, v17, v11, vcc
	v_cndmask_b32_e64 v16, v23, v21, s[0:1]
	v_cmp_ne_u32_e32 vcc, 0, v11
	v_cndmask_b32_e64 v11, v22, v20, s[0:1]
	v_cndmask_b32_e32 v17, v19, v16, vcc
	v_cndmask_b32_e32 v16, v3, v11, vcc
                                        ; implicit-def: $vgpr11
.LBB11_18:                              ;   in Loop: Header=BB11_4 Depth=1
	s_andn2_saveexec_b64 s[0:1], s[2:3]
	s_cbranch_execz .LBB11_20
; %bb.19:                               ;   in Loop: Header=BB11_4 Depth=1
	v_cvt_f32_u32_e32 v3, s58
	s_sub_i32 s2, 0, s58
	v_mov_b32_e32 v17, v2
	v_rcp_iflag_f32_e32 v3, v3
	v_mul_f32_e32 v3, 0x4f7ffffe, v3
	v_cvt_u32_f32_e32 v3, v3
	v_mul_lo_u32 v15, s2, v3
	v_mul_hi_u32 v15, v3, v15
	v_add_u32_e32 v3, v3, v15
	v_mul_hi_u32 v3, v11, v3
	v_mul_lo_u32 v15, v3, s58
	v_sub_u32_e32 v11, v11, v15
	v_add_u32_e32 v16, 1, v3
	v_subrev_u32_e32 v15, s58, v11
	v_cmp_le_u32_e32 vcc, s58, v11
	v_cndmask_b32_e32 v11, v11, v15, vcc
	v_cndmask_b32_e32 v3, v3, v16, vcc
	v_add_u32_e32 v15, 1, v3
	v_cmp_le_u32_e32 vcc, s58, v11
	v_cndmask_b32_e32 v16, v3, v15, vcc
.LBB11_20:                              ;   in Loop: Header=BB11_4 Depth=1
	s_or_b64 exec, exec, s[0:1]
	v_add_co_u32_e32 v3, vcc, v12, v10
	v_addc_co_u32_e32 v10, vcc, 0, v13, vcc
	v_mul_lo_u32 v12, v3, s11
	v_mul_lo_u32 v13, v10, s10
	v_mad_u64_u32 v[10:11], s[0:1], v3, s10, v[8:9]
	v_add_co_u32_e32 v9, vcc, v16, v14
	v_add3_u32 v3, v13, v11, v12
	v_add_u32_e32 v8, s51, v8
	v_addc_co_u32_e32 v12, vcc, 0, v17, vcc
	v_min_i32_e32 v11, s20, v8
	v_mul_lo_u32 v8, v9, s13
	v_mul_lo_u32 v14, v12, s12
	v_mad_u64_u32 v[12:13], s[0:1], v9, s12, v[6:7]
	v_add3_u32 v13, v14, v13, v8
	v_mul_lo_u32 v3, v3, s22
	v_mad_u64_u32 v[8:9], s[0:1], v10, s22, v[12:13]
	v_mul_lo_u32 v7, v10, s23
	v_add3_u32 v9, v3, v9, v7
	v_cmp_gt_i32_e32 vcc, v11, v10
	v_mov_b32_e32 v16, 0xfffffc00
	s_and_saveexec_b64 s[34:35], vcc
	s_cbranch_execz .LBB11_3
; %bb.21:                               ;   in Loop: Header=BB11_4 Depth=1
	v_add_u32_e32 v3, s52, v6
	v_pk_mov_b32 v[6:7], s[18:19], s[18:19] op_sel:[0,1]
	v_min_i32_e32 v17, s22, v3
	v_mad_u64_u32 v[6:7], s[0:1], s14, v4, v[6:7]
	v_mul_lo_u32 v5, s14, v5
	v_mul_lo_u32 v4, s15, v4
	v_ashrrev_i32_e32 v3, 31, v10
	v_cmp_gt_i32_e32 vcc, v17, v12
	v_add3_u32 v7, v4, v7, v5
	s_mov_b64 s[36:37], 0
	v_mov_b32_e32 v16, 0xfffffc00
	s_branch .LBB11_23
.LBB11_22:                              ;   in Loop: Header=BB11_23 Depth=2
	s_or_b64 exec, exec, s[38:39]
	v_add_u32_e32 v10, s6, v10
	v_cmp_ge_i32_e64 s[0:1], v10, v11
	s_or_b64 s[36:37], s[0:1], s[36:37]
	v_ashrrev_i32_e32 v3, 31, v10
	s_andn2_b64 exec, exec, s[36:37]
	s_cbranch_execz .LBB11_2
.LBB11_23:                              ;   Parent Loop BB11_4 Depth=1
                                        ; =>  This Loop Header: Depth=2
                                        ;       Child Loop BB11_25 Depth 3
	s_and_saveexec_b64 s[38:39], vcc
	s_cbranch_execz .LBB11_22
; %bb.24:                               ;   in Loop: Header=BB11_23 Depth=2
	v_ashrrev_i32_e32 v13, 31, v12
	v_mul_lo_u32 v14, v10, s23
	v_mul_lo_u32 v3, v3, s22
	v_mad_u64_u32 v[4:5], s[0:1], v10, s22, v[12:13]
	v_add3_u32 v5, v3, v5, v14
	v_lshlrev_b64 v[14:15], 1, v[4:5]
	v_add_co_u32_e64 v14, s[0:1], v6, v14
	v_addc_co_u32_e64 v15, s[0:1], v7, v15, s[0:1]
	s_mov_b64 s[40:41], 0
	v_mov_b32_e32 v3, v12
.LBB11_25:                              ;   Parent Loop BB11_4 Depth=1
                                        ;     Parent Loop BB11_23 Depth=2
                                        ; =>    This Inner Loop Header: Depth=3
	global_load_ushort v13, v[14:15], off
	v_mov_b32_e32 v20, s29
	v_add_co_u32_e64 v14, s[0:1], s28, v14
	v_add_u32_e32 v3, s7, v3
	v_addc_co_u32_e64 v15, s[0:1], v15, v20, s[0:1]
	v_cmp_ge_i32_e64 s[0:1], v3, v17
	v_mov_b32_e32 v19, s13
	s_waitcnt vmcnt(0)
	v_cmp_gt_f16_e64 s[2:3], v13, v16
	v_cmp_u_f16_e64 s[4:5], v13, v13
	s_or_b64 s[2:3], s[2:3], s[4:5]
	v_cndmask_b32_e64 v8, v8, v4, s[2:3]
	s_or_b64 s[40:41], s[0:1], s[40:41]
	v_add_co_u32_e64 v4, s[0:1], s12, v4
	v_cndmask_b32_e64 v16, v16, v13, s[2:3]
	v_cndmask_b32_e64 v9, v9, v5, s[2:3]
	v_addc_co_u32_e64 v5, s[0:1], v5, v19, s[0:1]
	s_andn2_b64 exec, exec, s[40:41]
	s_cbranch_execnz .LBB11_25
; %bb.26:                               ;   in Loop: Header=BB11_23 Depth=2
	s_or_b64 exec, exec, s[40:41]
	s_branch .LBB11_22
.LBB11_27:
	s_endpgm
	.section	.rodata,"a",@progbits
	.p2align	6, 0x0
	.amdhsa_kernel _ZN2at6native12_GLOBAL__N_121max_pool_forward_nchwIN3c104HalfElEEvT0_PKT_llliiiiiiiiiiPS6_Pl
		.amdhsa_group_segment_fixed_size 0
		.amdhsa_private_segment_fixed_size 0
		.amdhsa_kernarg_size 352
		.amdhsa_user_sgpr_count 6
		.amdhsa_user_sgpr_private_segment_buffer 1
		.amdhsa_user_sgpr_dispatch_ptr 0
		.amdhsa_user_sgpr_queue_ptr 0
		.amdhsa_user_sgpr_kernarg_segment_ptr 1
		.amdhsa_user_sgpr_dispatch_id 0
		.amdhsa_user_sgpr_flat_scratch_init 0
		.amdhsa_user_sgpr_kernarg_preload_length 0
		.amdhsa_user_sgpr_kernarg_preload_offset 0
		.amdhsa_user_sgpr_private_segment_size 0
		.amdhsa_uses_dynamic_stack 0
		.amdhsa_system_sgpr_private_segment_wavefront_offset 0
		.amdhsa_system_sgpr_workgroup_id_x 1
		.amdhsa_system_sgpr_workgroup_id_y 0
		.amdhsa_system_sgpr_workgroup_id_z 0
		.amdhsa_system_sgpr_workgroup_info 0
		.amdhsa_system_vgpr_workitem_id 0
		.amdhsa_next_free_vgpr 25
		.amdhsa_next_free_sgpr 59
		.amdhsa_accum_offset 28
		.amdhsa_reserve_vcc 1
		.amdhsa_reserve_flat_scratch 0
		.amdhsa_float_round_mode_32 0
		.amdhsa_float_round_mode_16_64 0
		.amdhsa_float_denorm_mode_32 3
		.amdhsa_float_denorm_mode_16_64 3
		.amdhsa_dx10_clamp 1
		.amdhsa_ieee_mode 1
		.amdhsa_fp16_overflow 0
		.amdhsa_tg_split 0
		.amdhsa_exception_fp_ieee_invalid_op 0
		.amdhsa_exception_fp_denorm_src 0
		.amdhsa_exception_fp_ieee_div_zero 0
		.amdhsa_exception_fp_ieee_overflow 0
		.amdhsa_exception_fp_ieee_underflow 0
		.amdhsa_exception_fp_ieee_inexact 0
		.amdhsa_exception_int_div_zero 0
	.end_amdhsa_kernel
	.section	.text._ZN2at6native12_GLOBAL__N_121max_pool_forward_nchwIN3c104HalfElEEvT0_PKT_llliiiiiiiiiiPS6_Pl,"axG",@progbits,_ZN2at6native12_GLOBAL__N_121max_pool_forward_nchwIN3c104HalfElEEvT0_PKT_llliiiiiiiiiiPS6_Pl,comdat
.Lfunc_end11:
	.size	_ZN2at6native12_GLOBAL__N_121max_pool_forward_nchwIN3c104HalfElEEvT0_PKT_llliiiiiiiiiiPS6_Pl, .Lfunc_end11-_ZN2at6native12_GLOBAL__N_121max_pool_forward_nchwIN3c104HalfElEEvT0_PKT_llliiiiiiiiiiPS6_Pl
                                        ; -- End function
	.section	.AMDGPU.csdata,"",@progbits
; Kernel info:
; codeLenInByte = 4204
; NumSgprs: 63
; NumVgprs: 25
; NumAgprs: 0
; TotalNumVgprs: 25
; ScratchSize: 0
; MemoryBound: 0
; FloatMode: 240
; IeeeMode: 1
; LDSByteSize: 0 bytes/workgroup (compile time only)
; SGPRBlocks: 7
; VGPRBlocks: 3
; NumSGPRsForWavesPerEU: 63
; NumVGPRsForWavesPerEU: 25
; AccumOffset: 28
; Occupancy: 8
; WaveLimiterHint : 0
; COMPUTE_PGM_RSRC2:SCRATCH_EN: 0
; COMPUTE_PGM_RSRC2:USER_SGPR: 6
; COMPUTE_PGM_RSRC2:TRAP_HANDLER: 0
; COMPUTE_PGM_RSRC2:TGID_X_EN: 1
; COMPUTE_PGM_RSRC2:TGID_Y_EN: 0
; COMPUTE_PGM_RSRC2:TGID_Z_EN: 0
; COMPUTE_PGM_RSRC2:TIDIG_COMP_CNT: 0
; COMPUTE_PGM_RSRC3_GFX90A:ACCUM_OFFSET: 6
; COMPUTE_PGM_RSRC3_GFX90A:TG_SPLIT: 0
	.section	.text._ZN2at6native12_GLOBAL__N_121max_pool_forward_nhwcIN3c108BFloat16EiEEvPKT_iT0_S8_S8_S8_S8_iiiiiiiiS8_S8_S8_S8_iiPS5_Pl,"axG",@progbits,_ZN2at6native12_GLOBAL__N_121max_pool_forward_nhwcIN3c108BFloat16EiEEvPKT_iT0_S8_S8_S8_S8_iiiiiiiiS8_S8_S8_S8_iiPS5_Pl,comdat
	.globl	_ZN2at6native12_GLOBAL__N_121max_pool_forward_nhwcIN3c108BFloat16EiEEvPKT_iT0_S8_S8_S8_S8_iiiiiiiiS8_S8_S8_S8_iiPS5_Pl ; -- Begin function _ZN2at6native12_GLOBAL__N_121max_pool_forward_nhwcIN3c108BFloat16EiEEvPKT_iT0_S8_S8_S8_S8_iiiiiiiiS8_S8_S8_S8_iiPS5_Pl
	.p2align	8
	.type	_ZN2at6native12_GLOBAL__N_121max_pool_forward_nhwcIN3c108BFloat16EiEEvPKT_iT0_S8_S8_S8_S8_iiiiiiiiS8_S8_S8_S8_iiPS5_Pl,@function
_ZN2at6native12_GLOBAL__N_121max_pool_forward_nhwcIN3c108BFloat16EiEEvPKT_iT0_S8_S8_S8_S8_iiiiiiiiS8_S8_S8_S8_iiPS5_Pl: ; @_ZN2at6native12_GLOBAL__N_121max_pool_forward_nhwcIN3c108BFloat16EiEEvPKT_iT0_S8_S8_S8_S8_iiiiiiiiS8_S8_S8_S8_iiPS5_Pl
; %bb.0:
	s_load_dwordx4 s[0:3], s[4:5], 0x6c
	s_load_dwordx4 s[36:39], s[4:5], 0x48
	v_bfe_u32 v2, v0, 10, 10
	v_bfe_u32 v3, v0, 20, 10
	v_and_b32_e32 v6, 0x3ff, v0
	s_waitcnt lgkmcnt(0)
	s_and_b32 s15, s2, 0xffff
	s_lshr_b32 s56, s2, 16
	s_mul_i32 s14, s15, s39
	s_and_b32 s33, s3, 0xffff
	s_mul_i32 s9, s14, s56
	v_mad_u32_u24 v7, v3, s56, v2
	s_mul_i32 s9, s9, s33
	v_mad_u64_u32 v[0:1], s[2:3], v7, s15, v[6:7]
	v_cmp_gt_u32_e32 vcc, s9, v0
	s_and_saveexec_b64 s[2:3], vcc
	s_cbranch_execz .LBB12_3
; %bb.1:
	s_mul_i32 s12, s56, s15
	s_lshl_b32 s10, s9, 2
	s_mul_i32 s12, s12, s33
	s_add_i32 s10, s10, 0
	v_lshl_add_u32 v1, v0, 1, s10
	s_lshl_b32 s13, s12, 1
	v_lshl_add_u32 v4, v0, 2, 0
	s_lshl_b32 s16, s12, 2
	s_mov_b64 s[10:11], 0
	v_mov_b32_e32 v5, 0xffffff80
	v_mov_b32_e32 v8, 0
.LBB12_2:                               ; =>This Inner Loop Header: Depth=1
	v_add_u32_e32 v0, s12, v0
	v_cmp_le_u32_e32 vcc, s9, v0
	ds_write_b16 v1, v5
	ds_write_b32 v4, v8
	v_add_u32_e32 v1, s13, v1
	s_or_b64 s[10:11], vcc, s[10:11]
	v_add_u32_e32 v4, s16, v4
	s_andn2_b64 exec, exec, s[10:11]
	s_cbranch_execnz .LBB12_2
.LBB12_3:
	s_or_b64 exec, exec, s[2:3]
	v_cvt_f32_u32_e32 v0, s1
	s_load_dwordx16 s[16:31], s[4:5], 0x8
	s_sub_i32 s2, 0, s1
	s_waitcnt lgkmcnt(0)
	v_rcp_iflag_f32_e32 v0, v0
	s_barrier
	s_add_i32 s3, s20, s1
	s_add_i32 s3, s3, -1
	v_mul_f32_e32 v0, 0x4f7ffffe, v0
	v_cvt_u32_f32_e32 v0, v0
	v_cvt_f32_u32_e32 v1, s16
	v_readfirstlane_b32 s10, v0
	s_mul_i32 s2, s2, s10
	s_mul_hi_u32 s11, s10, s2
	v_cvt_f32_u32_e32 v0, s0
	s_add_i32 s10, s10, s11
	s_mul_hi_u32 s10, s3, s10
	s_mul_i32 s11, s10, s1
	s_sub_i32 s3, s3, s11
	v_rcp_iflag_f32_e32 v0, v0
	s_add_i32 s11, s10, 1
	s_sub_i32 s12, s3, s1
	v_rcp_iflag_f32_e32 v1, v1
	s_cmp_ge_u32 s3, s1
	s_cselect_b32 s10, s11, s10
	s_cselect_b32 s3, s12, s3
	v_mul_f32_e32 v0, 0x4f7ffffe, v0
	s_add_i32 s11, s10, 1
	v_cvt_u32_f32_e32 v0, v0
	s_cmp_ge_u32 s3, s1
	v_mul_f32_e32 v1, 0x4f7ffffe, v1
	s_cselect_b32 s3, s11, s10
	v_cvt_u32_f32_e32 v1, v1
	s_mul_i32 s8, s3, s8
	v_add_u32_e32 v3, s8, v3
	v_readfirstlane_b32 s1, v0
	v_add_u32_e32 v0, s3, v3
	v_min_i32_e32 v16, s20, v0
	v_readfirstlane_b32 s2, v1
	v_cmp_lt_i32_e32 vcc, v3, v16
	s_and_saveexec_b64 s[10:11], vcc
	s_cbranch_execz .LBB12_74
; %bb.4:
	s_sub_i32 s3, 0, s16
	s_mul_i32 s3, s3, s2
	s_mul_hi_u32 s3, s2, s3
	s_add_i32 s2, s2, s3
	s_add_i32 s3, s21, s0
	s_add_i32 s40, s3, -1
	s_sub_i32 s3, 0, s0
	s_mul_i32 s3, s3, s1
	s_mul_hi_u32 s3, s1, s3
	s_mul_hi_u32 s2, s6, s2
	s_add_i32 s1, s1, s3
	s_lshl_b32 s3, s9, 2
	s_add_i32 s41, s3, 0
	s_mul_i32 s3, s2, s16
	s_sub_i32 s3, s6, s3
	s_add_i32 s8, s2, 1
	s_sub_i32 s9, s3, s16
	s_cmp_ge_u32 s3, s16
	s_cselect_b32 s2, s8, s2
	s_cselect_b32 s3, s9, s3
	s_add_i32 s8, s2, 1
	s_cmp_ge_u32 s3, s16
	s_cselect_b32 s2, s8, s2
	s_mul_i32 s3, s2, s16
	s_mul_i32 s2, s2, s15
	v_add_u32_e32 v0, s2, v6
	s_mul_i32 s2, s20, s17
	s_sub_i32 s6, s6, s3
	s_mul_i32 s2, s2, s21
	s_mul_i32 s12, s2, s6
	s_load_dwordx2 s[2:3], s[4:5], 0x0
	s_mul_i32 s8, s6, s30
	s_ashr_i32 s9, s8, 31
	s_mul_hi_u32 s1, s40, s1
	s_ashr_i32 s13, s12, 31
	s_lshl_b64 s[34:35], s[8:9], 1
	s_load_dwordx4 s[8:11], s[4:5], 0x58
	s_waitcnt lgkmcnt(0)
	s_add_u32 s16, s2, s34
	s_mul_i32 s2, s1, s0
	s_addc_u32 s57, s3, s35
	s_sub_i32 s2, s40, s2
	s_add_i32 s3, s1, 1
	s_sub_i32 s4, s2, s0
	s_cmp_ge_u32 s2, s0
	s_cselect_b32 s1, s3, s1
	s_cselect_b32 s2, s4, s2
	s_add_i32 s3, s1, 1
	s_cmp_ge_u32 s2, s0
	s_cselect_b32 s0, s3, s1
	s_mul_i32 s1, s0, s7
	v_add_u32_e32 v2, s1, v2
	v_add_u32_e32 v4, s0, v2
	s_add_i32 s0, s22, -1
	s_add_i32 s2, s23, -1
	s_mul_i32 s58, s0, s28
	s_mul_i32 s59, s2, s29
	s_add_i32 s58, s58, 1
	s_add_i32 s59, s59, 1
	s_max_i32 s2, s22, s23
	v_mul_lo_u32 v1, s14, v7
	s_cmp_lt_i32 s2, 4
	s_mul_i32 s14, s15, s38
	s_cselect_b64 s[2:3], -1, 0
	s_cmp_ge_u32 s14, s17
	s_cselect_b64 s[4:5], -1, 0
	s_max_u32 s60, s28, 1
	v_cvt_f32_u32_e32 v12, s60
	v_min_i32_e32 v17, s21, v4
	v_mul_lo_u32 v4, v0, s31
	v_ashrrev_i32_e32 v5, 31, v4
	v_lshlrev_b64 v[8:9], 1, v[4:5]
	v_add_co_u32_e32 v5, vcc, s16, v8
	v_rcp_iflag_f32_e32 v8, v12
	v_mov_b32_e32 v11, s57
	v_lshlrev_b32_e32 v10, 1, v1
	v_lshlrev_b32_e32 v1, 2, v1
	v_mul_f32_e32 v8, 0x4f7ffffe, v8
	v_cvt_u32_f32_e32 v8, v8
	s_and_b64 s[22:23], s[2:3], s[4:5]
	v_addc_co_u32_e32 v18, vcc, v11, v9, vcc
	v_lshlrev_b32_e32 v9, 1, v6
	v_lshlrev_b32_e32 v6, 2, v6
	s_sub_i32 s4, 0, s60
	v_add3_u32 v20, 0, v1, v6
	v_mul_lo_u32 v1, s4, v8
	v_mul_hi_u32 v1, v8, v1
	v_add_u32_e32 v21, v8, v1
	s_mul_i32 s4, s56, s33
	v_lshlrev_b32_e32 v1, 1, v7
	v_lshl_add_u32 v1, s4, 2, v1
	v_mul_lo_u32 v1, s39, v1
	v_mul_lo_u32 v1, v1, s15
	v_add3_u32 v23, v1, v9, 0
	v_mul_lo_u32 v1, s39, v7
	v_mul_lo_u32 v1, v1, s15
	s_lshl_b32 s61, s29, 1
	s_lshl_b32 s63, s15, 1
	v_lshlrev_b32_e32 v1, 2, v1
	s_lshl_b32 s64, s15, 2
	s_lshl_b64 s[4:5], s[12:13], 1
	v_add3_u32 v24, v1, v6, 0
	v_ashrrev_i32_e32 v1, 31, v0
	s_add_u32 s4, s8, s4
	v_lshlrev_b64 v[6:7], 1, v[0:1]
	s_addc_u32 s5, s9, s5
	s_mul_i32 s62, s38, s31
	v_mov_b32_e32 v8, s5
	v_add_co_u32_e32 v25, vcc, s4, v6
	s_mul_i32 s62, s62, s15
	v_addc_co_u32_e32 v26, vcc, v8, v7, vcc
	v_mad_u64_u32 v[6:7], s[4:5], s21, v3, v[2:3]
	s_ashr_i32 s15, s14, 31
	s_mul_i32 s65, s21, s17
	s_lshl_b64 s[20:21], s[14:15], 1
	s_lshl_b64 s[4:5], s[12:13], 3
	s_add_u32 s4, s10, s4
	v_mul_lo_u32 v27, s17, v6
	v_lshlrev_b64 v[6:7], 3, v[0:1]
	s_addc_u32 s5, s11, s5
	v_mov_b32_e32 v8, s5
	v_add_co_u32_e32 v1, vcc, s4, v6
	v_cmp_lt_i32_e64 s[0:1], v2, v17
	v_cmp_gt_i32_e64 s[2:3], s17, v0
	v_add3_u32 v19, s41, v10, v9
	v_mov_b32_e32 v22, 0
	s_mul_i32 s65, s65, s33
	s_mul_i32 s66, s17, s56
	v_addc_co_u32_e32 v28, vcc, v8, v7, vcc
	s_lshl_b64 s[30:31], s[14:15], 3
	s_mov_b64 s[34:35], 0
	v_mov_b32_e32 v29, 0xffffff80
	s_branch .LBB12_6
.LBB12_5:                               ;   in Loop: Header=BB12_6 Depth=1
	s_or_b64 exec, exec, s[38:39]
	v_add_u32_e32 v3, s33, v3
	v_cmp_ge_i32_e32 vcc, v3, v16
	s_or_b64 s[34:35], vcc, s[34:35]
	v_add_u32_e32 v27, s65, v27
	s_andn2_b64 exec, exec, s[34:35]
	s_cbranch_execz .LBB12_74
.LBB12_6:                               ; =>This Loop Header: Depth=1
                                        ;     Child Loop BB12_9 Depth 2
                                        ;       Child Loop BB12_10 Depth 3
                                        ;       Child Loop BB12_63 Depth 3
                                        ;         Child Loop BB12_66 Depth 4
                                        ;           Child Loop BB12_69 Depth 5
                                        ;       Child Loop BB12_73 Depth 3
	s_and_saveexec_b64 s[38:39], s[0:1]
	s_cbranch_execz .LBB12_5
; %bb.7:                                ;   in Loop: Header=BB12_6 Depth=1
	v_mul_lo_u32 v6, v3, s24
	v_subrev_u32_e32 v6, s26, v6
	v_add_u32_e32 v7, s58, v6
	v_min_i32_e32 v30, s18, v7
	s_mov_b64 s[40:41], 0
	v_mov_b32_e32 v8, v27
	v_mov_b32_e32 v31, v2
	s_branch .LBB12_9
.LBB12_8:                               ;   in Loop: Header=BB12_9 Depth=2
	s_or_b64 exec, exec, s[4:5]
	v_add_u32_e32 v31, s56, v31
	v_cmp_ge_i32_e32 vcc, v31, v17
	s_or_b64 s[40:41], vcc, s[40:41]
	v_add_u32_e32 v8, s66, v8
	s_andn2_b64 exec, exec, s[40:41]
	s_cbranch_execz .LBB12_5
.LBB12_9:                               ;   Parent Loop BB12_6 Depth=1
                                        ; =>  This Loop Header: Depth=2
                                        ;       Child Loop BB12_10 Depth 3
                                        ;       Child Loop BB12_63 Depth 3
                                        ;         Child Loop BB12_66 Depth 4
                                        ;           Child Loop BB12_69 Depth 5
                                        ;       Child Loop BB12_73 Depth 3
	v_mul_lo_u32 v7, v31, s25
	v_subrev_u32_e32 v7, s27, v7
	s_mov_b64 s[4:5], 0
	v_mov_b32_e32 v33, v7
.LBB12_10:                              ;   Parent Loop BB12_6 Depth=1
                                        ;     Parent Loop BB12_9 Depth=2
                                        ; =>    This Inner Loop Header: Depth=3
	v_mov_b32_e32 v9, v33
	v_cmp_lt_i32_e32 vcc, -1, v9
	s_or_b64 s[4:5], vcc, s[4:5]
	v_add_u32_e32 v33, s29, v9
	s_andn2_b64 exec, exec, s[4:5]
	s_cbranch_execnz .LBB12_10
; %bb.11:                               ;   in Loop: Header=BB12_9 Depth=2
	s_or_b64 exec, exec, s[4:5]
	v_lshrrev_b32_e32 v11, 31, v6
	s_waitcnt vmcnt(0)
	v_max_i32_e32 v10, 0, v6
	v_add_u32_e32 v12, v6, v11
	v_sub_u32_e32 v10, v10, v12
	v_mul_hi_u32 v12, v10, v21
	v_mul_lo_u32 v13, v12, s60
	v_sub_u32_e32 v10, v10, v13
	v_add_u32_e32 v13, 1, v12
	v_cmp_le_u32_e32 vcc, s60, v10
	v_cndmask_b32_e32 v12, v12, v13, vcc
	v_subrev_u32_e32 v13, s60, v10
	v_cndmask_b32_e32 v10, v10, v13, vcc
	v_add_u32_e32 v13, 1, v12
	v_cmp_le_u32_e32 vcc, s60, v10
	v_cndmask_b32_e32 v10, v12, v13, vcc
	v_add_u32_e32 v7, s59, v7
	v_add_u32_e32 v10, v11, v10
	v_min_i32_e32 v32, s19, v7
	v_mad_u64_u32 v[6:7], s[4:5], v10, s28, v[6:7]
	v_cmp_lt_i32_e64 s[4:5], v6, v30
	s_mov_b64 s[6:7], -1
	s_and_b64 vcc, exec, s[22:23]
	s_cbranch_vccnz .LBB12_14
; %bb.12:                               ;   in Loop: Header=BB12_9 Depth=2
	s_and_b64 vcc, exec, s[6:7]
	s_cbranch_vccnz .LBB12_60
.LBB12_13:                              ;   in Loop: Header=BB12_9 Depth=2
	s_and_saveexec_b64 s[4:5], s[2:3]
	s_cbranch_execz .LBB12_8
	s_branch .LBB12_72
.LBB12_14:                              ;   in Loop: Header=BB12_9 Depth=2
	v_mul_lo_u32 v10, v6, s36
	v_ashrrev_i32_e32 v11, 31, v10
	v_lshlrev_b64 v[10:11], 1, v[10:11]
	v_add_co_u32_e32 v36, vcc, v5, v10
	v_addc_co_u32_e32 v37, vcc, v18, v11, vcc
	v_cmp_lt_i32_e32 vcc, v9, v32
	s_and_b64 s[6:7], s[4:5], vcc
	v_mul_lo_u32 v10, v9, s37
	s_and_b64 s[42:43], s[2:3], s[6:7]
	v_mov_b32_e32 v34, 0
	v_ashrrev_i32_e32 v11, 31, v10
	v_mov_b32_e32 v38, 0
	s_and_saveexec_b64 s[8:9], s[42:43]
	s_cbranch_execz .LBB12_16
; %bb.15:                               ;   in Loop: Header=BB12_9 Depth=2
	v_lshlrev_b64 v[12:13], 1, v[10:11]
	v_add_co_u32_e64 v12, s[6:7], v36, v12
	v_addc_co_u32_e64 v13, s[6:7], v37, v13, s[6:7]
	global_load_ushort v38, v[12:13], off
.LBB12_16:                              ;   in Loop: Header=BB12_9 Depth=2
	s_or_b64 exec, exec, s[8:9]
	v_cmp_lt_i32_e64 s[6:7], v33, v32
	s_and_b64 s[8:9], s[4:5], s[6:7]
	v_mul_lo_u32 v12, v33, s37
	s_and_b64 s[44:45], s[2:3], s[8:9]
	v_ashrrev_i32_e32 v13, 31, v12
	s_and_saveexec_b64 s[10:11], s[44:45]
	s_cbranch_execz .LBB12_18
; %bb.17:                               ;   in Loop: Header=BB12_9 Depth=2
	v_lshlrev_b64 v[14:15], 1, v[12:13]
	v_add_co_u32_e64 v14, s[8:9], v36, v14
	v_addc_co_u32_e64 v15, s[8:9], v37, v15, s[8:9]
	global_load_ushort v34, v[14:15], off
.LBB12_18:                              ;   in Loop: Header=BB12_9 Depth=2
	s_or_b64 exec, exec, s[10:11]
	v_add_u32_e32 v7, s61, v9
	v_cmp_lt_i32_e64 s[8:9], v7, v32
	s_and_b64 s[10:11], s[4:5], s[8:9]
	v_mul_lo_u32 v14, v7, s37
	s_and_b64 s[46:47], s[2:3], s[10:11]
	v_mov_b32_e32 v35, 0
	v_ashrrev_i32_e32 v15, 31, v14
	v_mov_b32_e32 v39, 0
	s_and_saveexec_b64 s[12:13], s[46:47]
	s_cbranch_execz .LBB12_20
; %bb.19:                               ;   in Loop: Header=BB12_9 Depth=2
	v_lshlrev_b64 v[40:41], 1, v[14:15]
	v_add_co_u32_e64 v36, s[10:11], v36, v40
	v_addc_co_u32_e64 v37, s[10:11], v37, v41, s[10:11]
	global_load_ushort v39, v[36:37], off
.LBB12_20:                              ;   in Loop: Header=BB12_9 Depth=2
	s_or_b64 exec, exec, s[12:13]
	v_add_u32_e32 v42, s28, v6
	v_mul_lo_u32 v36, v42, s36
	v_ashrrev_i32_e32 v37, 31, v36
	v_lshlrev_b64 v[40:41], 1, v[36:37]
	v_add_co_u32_e64 v37, s[12:13], v5, v40
	v_cmp_lt_i32_e64 s[10:11], v42, v30
	v_addc_co_u32_e64 v41, s[12:13], v18, v41, s[12:13]
	s_and_b64 s[12:13], s[10:11], vcc
	s_and_b64 s[52:53], s[2:3], s[12:13]
	s_and_saveexec_b64 s[48:49], s[52:53]
	s_cbranch_execz .LBB12_22
; %bb.21:                               ;   in Loop: Header=BB12_9 Depth=2
	v_lshlrev_b64 v[44:45], 1, v[10:11]
	v_add_co_u32_e64 v44, s[12:13], v37, v44
	v_addc_co_u32_e64 v45, s[12:13], v41, v45, s[12:13]
	global_load_ushort v35, v[44:45], off
.LBB12_22:                              ;   in Loop: Header=BB12_9 Depth=2
	s_or_b64 exec, exec, s[48:49]
	s_and_b64 s[12:13], s[10:11], s[6:7]
	s_and_b64 s[50:51], s[2:3], s[12:13]
	v_mov_b32_e32 v36, 0
	v_mov_b32_e32 v40, 0
	s_and_saveexec_b64 s[48:49], s[50:51]
	s_cbranch_execz .LBB12_24
; %bb.23:                               ;   in Loop: Header=BB12_9 Depth=2
	v_lshlrev_b64 v[44:45], 1, v[12:13]
	v_add_co_u32_e64 v44, s[12:13], v37, v44
	v_addc_co_u32_e64 v45, s[12:13], v41, v45, s[12:13]
	global_load_ushort v40, v[44:45], off
.LBB12_24:                              ;   in Loop: Header=BB12_9 Depth=2
	s_or_b64 exec, exec, s[48:49]
	s_and_b64 s[10:11], s[10:11], s[8:9]
	s_and_b64 s[48:49], s[2:3], s[10:11]
	s_and_saveexec_b64 s[12:13], s[48:49]
	s_cbranch_execz .LBB12_26
; %bb.25:                               ;   in Loop: Header=BB12_9 Depth=2
	v_lshlrev_b64 v[44:45], 1, v[14:15]
	v_add_co_u32_e64 v36, s[10:11], v37, v44
	v_addc_co_u32_e64 v37, s[10:11], v41, v45, s[10:11]
	global_load_ushort v36, v[36:37], off
.LBB12_26:                              ;   in Loop: Header=BB12_9 Depth=2
	s_or_b64 exec, exec, s[12:13]
	v_add_u32_e32 v43, s28, v42
	v_mul_lo_u32 v44, v43, s36
	v_ashrrev_i32_e32 v45, 31, v44
	v_lshlrev_b64 v[44:45], 1, v[44:45]
	v_add_co_u32_e64 v44, s[12:13], v5, v44
	v_cmp_lt_i32_e64 s[10:11], v43, v30
	v_addc_co_u32_e64 v45, s[12:13], v18, v45, s[12:13]
	s_and_b64 s[12:13], s[10:11], vcc
	s_and_b64 s[54:55], s[2:3], s[12:13]
	v_mov_b32_e32 v37, 0
	v_mov_b32_e32 v41, 0
	s_and_saveexec_b64 s[12:13], s[54:55]
	s_cbranch_execz .LBB12_28
; %bb.27:                               ;   in Loop: Header=BB12_9 Depth=2
	v_lshlrev_b64 v[10:11], 1, v[10:11]
	v_add_co_u32_e32 v10, vcc, v44, v10
	v_addc_co_u32_e32 v11, vcc, v45, v11, vcc
	global_load_ushort v41, v[10:11], off
.LBB12_28:                              ;   in Loop: Header=BB12_9 Depth=2
	s_or_b64 exec, exec, s[12:13]
	s_and_b64 s[6:7], s[10:11], s[6:7]
	s_and_b64 s[12:13], s[2:3], s[6:7]
	s_and_saveexec_b64 s[6:7], s[12:13]
	s_cbranch_execz .LBB12_30
; %bb.29:                               ;   in Loop: Header=BB12_9 Depth=2
	v_lshlrev_b64 v[10:11], 1, v[12:13]
	v_add_co_u32_e32 v10, vcc, v44, v10
	v_addc_co_u32_e32 v11, vcc, v45, v11, vcc
	global_load_ushort v37, v[10:11], off
.LBB12_30:                              ;   in Loop: Header=BB12_9 Depth=2
	s_or_b64 exec, exec, s[6:7]
	s_and_b64 s[6:7], s[10:11], s[8:9]
	s_and_b64 s[8:9], s[2:3], s[6:7]
	v_mov_b32_e32 v10, 0
	s_and_saveexec_b64 s[6:7], s[8:9]
	s_cbranch_execz .LBB12_32
; %bb.31:                               ;   in Loop: Header=BB12_9 Depth=2
	v_lshlrev_b64 v[10:11], 1, v[14:15]
	v_add_co_u32_e32 v10, vcc, v44, v10
	v_addc_co_u32_e32 v11, vcc, v45, v11, vcc
	global_load_ushort v10, v[10:11], off
.LBB12_32:                              ;   in Loop: Header=BB12_9 Depth=2
	s_or_b64 exec, exec, s[6:7]
	v_mul_lo_u32 v11, v6, s19
	s_and_saveexec_b64 s[10:11], s[42:43]
	s_cbranch_execz .LBB12_35
; %bb.33:                               ;   in Loop: Header=BB12_9 Depth=2
	ds_read_u16 v12, v19
	s_waitcnt vmcnt(0)
	v_lshlrev_b32_e32 v13, 16, v38
	v_cmp_u_f32_e64 s[6:7], v13, v13
	s_waitcnt lgkmcnt(0)
	v_lshlrev_b32_e32 v12, 16, v12
	v_cmp_gt_f32_e32 vcc, v13, v12
	s_or_b64 s[6:7], s[6:7], vcc
	s_and_b64 exec, exec, s[6:7]
	s_cbranch_execz .LBB12_35
; %bb.34:                               ;   in Loop: Header=BB12_9 Depth=2
	v_add_u32_e32 v12, v9, v11
	ds_write_b16 v19, v38
	ds_write_b32 v20, v12
.LBB12_35:                              ;   in Loop: Header=BB12_9 Depth=2
	s_or_b64 exec, exec, s[10:11]
	s_and_saveexec_b64 s[10:11], s[44:45]
	s_cbranch_execz .LBB12_38
; %bb.36:                               ;   in Loop: Header=BB12_9 Depth=2
	ds_read_u16 v12, v19
	s_waitcnt vmcnt(0)
	v_lshlrev_b32_e32 v13, 16, v34
	v_cmp_u_f32_e64 s[6:7], v13, v13
	s_waitcnt lgkmcnt(0)
	v_lshlrev_b32_e32 v12, 16, v12
	v_cmp_gt_f32_e32 vcc, v13, v12
	s_or_b64 s[6:7], s[6:7], vcc
	s_and_b64 exec, exec, s[6:7]
	s_cbranch_execz .LBB12_38
; %bb.37:                               ;   in Loop: Header=BB12_9 Depth=2
	v_add_u32_e32 v12, v33, v11
	ds_write_b16 v19, v34
	ds_write_b32 v20, v12
.LBB12_38:                              ;   in Loop: Header=BB12_9 Depth=2
	s_or_b64 exec, exec, s[10:11]
	s_and_saveexec_b64 s[10:11], s[46:47]
	s_cbranch_execz .LBB12_41
; %bb.39:                               ;   in Loop: Header=BB12_9 Depth=2
	ds_read_u16 v12, v19
	s_waitcnt vmcnt(0)
	v_lshlrev_b32_e32 v13, 16, v39
	v_cmp_u_f32_e64 s[6:7], v13, v13
	s_waitcnt lgkmcnt(0)
	v_lshlrev_b32_e32 v12, 16, v12
	v_cmp_gt_f32_e32 vcc, v13, v12
	s_or_b64 s[6:7], s[6:7], vcc
	s_and_b64 exec, exec, s[6:7]
	s_cbranch_execz .LBB12_41
; %bb.40:                               ;   in Loop: Header=BB12_9 Depth=2
	v_add_u32_e32 v11, v7, v11
	ds_write_b16 v19, v39
	ds_write_b32 v20, v11
.LBB12_41:                              ;   in Loop: Header=BB12_9 Depth=2
	s_or_b64 exec, exec, s[10:11]
	v_mul_lo_u32 v11, v42, s19
	s_and_saveexec_b64 s[10:11], s[52:53]
	s_cbranch_execz .LBB12_44
; %bb.42:                               ;   in Loop: Header=BB12_9 Depth=2
	ds_read_u16 v12, v19
	s_waitcnt vmcnt(0)
	v_lshlrev_b32_e32 v13, 16, v35
	v_cmp_u_f32_e64 s[6:7], v13, v13
	s_waitcnt lgkmcnt(0)
	v_lshlrev_b32_e32 v12, 16, v12
	v_cmp_gt_f32_e32 vcc, v13, v12
	s_or_b64 s[6:7], s[6:7], vcc
	s_and_b64 exec, exec, s[6:7]
	s_cbranch_execz .LBB12_44
; %bb.43:                               ;   in Loop: Header=BB12_9 Depth=2
	v_add_u32_e32 v12, v9, v11
	ds_write_b16 v19, v35
	ds_write_b32 v20, v12
.LBB12_44:                              ;   in Loop: Header=BB12_9 Depth=2
	s_or_b64 exec, exec, s[10:11]
	s_and_saveexec_b64 s[10:11], s[50:51]
	s_cbranch_execz .LBB12_47
; %bb.45:                               ;   in Loop: Header=BB12_9 Depth=2
	ds_read_u16 v12, v19
	s_waitcnt vmcnt(0)
	v_lshlrev_b32_e32 v13, 16, v40
	v_cmp_u_f32_e64 s[6:7], v13, v13
	s_waitcnt lgkmcnt(0)
	v_lshlrev_b32_e32 v12, 16, v12
	v_cmp_gt_f32_e32 vcc, v13, v12
	s_or_b64 s[6:7], s[6:7], vcc
	s_and_b64 exec, exec, s[6:7]
	s_cbranch_execz .LBB12_47
; %bb.46:                               ;   in Loop: Header=BB12_9 Depth=2
	v_add_u32_e32 v12, v33, v11
	ds_write_b16 v19, v40
	ds_write_b32 v20, v12
.LBB12_47:                              ;   in Loop: Header=BB12_9 Depth=2
	s_or_b64 exec, exec, s[10:11]
	s_and_saveexec_b64 s[10:11], s[48:49]
	s_cbranch_execz .LBB12_50
; %bb.48:                               ;   in Loop: Header=BB12_9 Depth=2
	ds_read_u16 v12, v19
	s_waitcnt vmcnt(0)
	v_lshlrev_b32_e32 v13, 16, v36
	v_cmp_u_f32_e64 s[6:7], v13, v13
	s_waitcnt lgkmcnt(0)
	v_lshlrev_b32_e32 v12, 16, v12
	v_cmp_gt_f32_e32 vcc, v13, v12
	s_or_b64 s[6:7], s[6:7], vcc
	s_and_b64 exec, exec, s[6:7]
	s_cbranch_execz .LBB12_50
; %bb.49:                               ;   in Loop: Header=BB12_9 Depth=2
	v_add_u32_e32 v11, v7, v11
	ds_write_b16 v19, v36
	ds_write_b32 v20, v11
.LBB12_50:                              ;   in Loop: Header=BB12_9 Depth=2
	;; [unrolled: 58-line block ×3, first 2 shown]
	s_or_b64 exec, exec, s[10:11]
	s_branch .LBB12_13
.LBB12_60:                              ;   in Loop: Header=BB12_9 Depth=2
	s_and_saveexec_b64 s[8:9], s[4:5]
	s_cbranch_execz .LBB12_71
; %bb.61:                               ;   in Loop: Header=BB12_9 Depth=2
	v_cmp_lt_i32_e32 vcc, v9, v32
	s_mov_b64 s[10:11], 0
	v_mov_b32_e32 v7, v6
	s_branch .LBB12_63
.LBB12_62:                              ;   in Loop: Header=BB12_63 Depth=3
	s_or_b64 exec, exec, s[12:13]
	v_add_u32_e32 v7, s28, v7
	v_cmp_ge_i32_e64 s[4:5], v7, v30
	s_or_b64 s[10:11], s[4:5], s[10:11]
	s_andn2_b64 exec, exec, s[10:11]
	s_cbranch_execz .LBB12_71
.LBB12_63:                              ;   Parent Loop BB12_6 Depth=1
                                        ;     Parent Loop BB12_9 Depth=2
                                        ; =>    This Loop Header: Depth=3
                                        ;         Child Loop BB12_66 Depth 4
                                        ;           Child Loop BB12_69 Depth 5
	s_and_saveexec_b64 s[12:13], vcc
	s_cbranch_execz .LBB12_62
; %bb.64:                               ;   in Loop: Header=BB12_63 Depth=3
	s_waitcnt vmcnt(0)
	v_mul_lo_u32 v10, v7, s36
	v_ashrrev_i32_e32 v11, 31, v10
	v_lshlrev_b64 v[10:11], 1, v[10:11]
	v_mov_b32_e32 v13, s57
	v_add_co_u32_e64 v12, s[4:5], s16, v10
	v_addc_co_u32_e64 v13, s[4:5], v13, v11, s[4:5]
	v_mul_lo_u32 v14, v7, s19
	s_mov_b64 s[42:43], 0
	v_mov_b32_e32 v15, v9
	s_branch .LBB12_66
.LBB12_65:                              ;   in Loop: Header=BB12_66 Depth=4
	s_or_b64 exec, exec, s[44:45]
	v_add_u32_e32 v15, s29, v15
	v_cmp_ge_i32_e64 s[4:5], v15, v32
	s_or_b64 s[42:43], s[4:5], s[42:43]
	s_andn2_b64 exec, exec, s[42:43]
	s_cbranch_execz .LBB12_62
.LBB12_66:                              ;   Parent Loop BB12_6 Depth=1
                                        ;     Parent Loop BB12_9 Depth=2
                                        ;       Parent Loop BB12_63 Depth=3
                                        ; =>      This Loop Header: Depth=4
                                        ;           Child Loop BB12_69 Depth 5
	s_and_saveexec_b64 s[44:45], s[2:3]
	s_cbranch_execz .LBB12_65
; %bb.67:                               ;   in Loop: Header=BB12_66 Depth=4
	v_mul_lo_u32 v10, v15, s37
	v_ashrrev_i32_e32 v11, 31, v10
	v_lshlrev_b64 v[10:11], 1, v[10:11]
	v_add_co_u32_e64 v33, s[4:5], v12, v10
	v_addc_co_u32_e64 v34, s[4:5], v13, v11, s[4:5]
	v_add_u32_e32 v35, v15, v14
	s_mov_b64 s[46:47], 0
	v_mov_b32_e32 v36, v24
	v_mov_b32_e32 v37, v23
	;; [unrolled: 1-line block ×4, first 2 shown]
	s_branch .LBB12_69
.LBB12_68:                              ;   in Loop: Header=BB12_69 Depth=5
	s_or_b64 exec, exec, s[4:5]
	v_add_u32_e32 v38, s14, v38
	v_cmp_le_i32_e64 s[4:5], s17, v38
	v_add_u32_e32 v10, s62, v10
	v_add_u32_e32 v37, s63, v37
	s_or_b64 s[46:47], s[4:5], s[46:47]
	v_add_u32_e32 v36, s64, v36
	s_andn2_b64 exec, exec, s[46:47]
	s_cbranch_execz .LBB12_65
.LBB12_69:                              ;   Parent Loop BB12_6 Depth=1
                                        ;     Parent Loop BB12_9 Depth=2
                                        ;       Parent Loop BB12_63 Depth=3
                                        ;         Parent Loop BB12_66 Depth=4
                                        ; =>        This Inner Loop Header: Depth=5
	v_ashrrev_i32_e32 v11, 31, v10
	v_lshlrev_b64 v[40:41], 1, v[10:11]
	v_add_co_u32_e64 v40, s[4:5], v33, v40
	v_addc_co_u32_e64 v41, s[4:5], v34, v41, s[4:5]
	global_load_ushort v11, v[40:41], off
	ds_read_u16 v39, v37
	s_waitcnt lgkmcnt(0)
	v_lshlrev_b32_e32 v39, 16, v39
	s_waitcnt vmcnt(0)
	v_lshlrev_b32_e32 v40, 16, v11
	v_cmp_gt_f32_e64 s[4:5], v40, v39
	v_cmp_u_f32_e64 s[6:7], v40, v40
	s_or_b64 s[6:7], s[6:7], s[4:5]
	s_and_saveexec_b64 s[4:5], s[6:7]
	s_cbranch_execz .LBB12_68
; %bb.70:                               ;   in Loop: Header=BB12_69 Depth=5
	ds_write_b16 v37, v11
	ds_write_b32 v36, v35
	s_branch .LBB12_68
.LBB12_71:                              ;   in Loop: Header=BB12_9 Depth=2
	s_or_b64 exec, exec, s[8:9]
	s_and_saveexec_b64 s[4:5], s[2:3]
	s_cbranch_execz .LBB12_8
.LBB12_72:                              ;   in Loop: Header=BB12_9 Depth=2
	v_ashrrev_i32_e32 v9, 31, v8
	s_waitcnt vmcnt(0)
	v_lshlrev_b64 v[10:11], 1, v[8:9]
	v_add_co_u32_e32 v10, vcc, v25, v10
	v_addc_co_u32_e32 v11, vcc, v26, v11, vcc
	v_lshlrev_b64 v[12:13], 3, v[8:9]
	v_add_co_u32_e32 v12, vcc, v1, v12
	v_addc_co_u32_e32 v13, vcc, v28, v13, vcc
	s_mov_b64 s[6:7], 0
	v_mov_b32_e32 v7, v24
	v_mov_b32_e32 v9, v23
	;; [unrolled: 1-line block ×3, first 2 shown]
.LBB12_73:                              ;   Parent Loop BB12_6 Depth=1
                                        ;     Parent Loop BB12_9 Depth=2
                                        ; =>    This Inner Loop Header: Depth=3
	ds_read_u16 v15, v9
	ds_read_b32 v32, v7
	v_add_u32_e32 v14, s14, v14
	v_cmp_le_i32_e32 vcc, s17, v14
	ds_write_b16 v9, v29
	ds_write_b32 v7, v22
	v_mov_b32_e32 v34, s21
	s_or_b64 s[6:7], vcc, s[6:7]
	s_waitcnt lgkmcnt(3)
	global_store_short v[10:11], v15, off
	v_add_co_u32_e32 v10, vcc, s20, v10
	s_waitcnt lgkmcnt(2)
	v_ashrrev_i32_e32 v33, 31, v32
	v_addc_co_u32_e32 v11, vcc, v11, v34, vcc
	v_mov_b32_e32 v35, s31
	global_store_dwordx2 v[12:13], v[32:33], off
	v_add_co_u32_e32 v12, vcc, s30, v12
	v_add_u32_e32 v9, s63, v9
	v_add_u32_e32 v7, s64, v7
	v_addc_co_u32_e32 v13, vcc, v13, v35, vcc
	s_andn2_b64 exec, exec, s[6:7]
	s_cbranch_execnz .LBB12_73
	s_branch .LBB12_8
.LBB12_74:
	s_endpgm
	.section	.rodata,"a",@progbits
	.p2align	6, 0x0
	.amdhsa_kernel _ZN2at6native12_GLOBAL__N_121max_pool_forward_nhwcIN3c108BFloat16EiEEvPKT_iT0_S8_S8_S8_S8_iiiiiiiiS8_S8_S8_S8_iiPS5_Pl
		.amdhsa_group_segment_fixed_size 0
		.amdhsa_private_segment_fixed_size 0
		.amdhsa_kernarg_size 360
		.amdhsa_user_sgpr_count 6
		.amdhsa_user_sgpr_private_segment_buffer 1
		.amdhsa_user_sgpr_dispatch_ptr 0
		.amdhsa_user_sgpr_queue_ptr 0
		.amdhsa_user_sgpr_kernarg_segment_ptr 1
		.amdhsa_user_sgpr_dispatch_id 0
		.amdhsa_user_sgpr_flat_scratch_init 0
		.amdhsa_user_sgpr_kernarg_preload_length 0
		.amdhsa_user_sgpr_kernarg_preload_offset 0
		.amdhsa_user_sgpr_private_segment_size 0
		.amdhsa_uses_dynamic_stack 0
		.amdhsa_system_sgpr_private_segment_wavefront_offset 0
		.amdhsa_system_sgpr_workgroup_id_x 1
		.amdhsa_system_sgpr_workgroup_id_y 1
		.amdhsa_system_sgpr_workgroup_id_z 1
		.amdhsa_system_sgpr_workgroup_info 0
		.amdhsa_system_vgpr_workitem_id 2
		.amdhsa_next_free_vgpr 46
		.amdhsa_next_free_sgpr 67
		.amdhsa_accum_offset 48
		.amdhsa_reserve_vcc 1
		.amdhsa_reserve_flat_scratch 0
		.amdhsa_float_round_mode_32 0
		.amdhsa_float_round_mode_16_64 0
		.amdhsa_float_denorm_mode_32 3
		.amdhsa_float_denorm_mode_16_64 3
		.amdhsa_dx10_clamp 1
		.amdhsa_ieee_mode 1
		.amdhsa_fp16_overflow 0
		.amdhsa_tg_split 0
		.amdhsa_exception_fp_ieee_invalid_op 0
		.amdhsa_exception_fp_denorm_src 0
		.amdhsa_exception_fp_ieee_div_zero 0
		.amdhsa_exception_fp_ieee_overflow 0
		.amdhsa_exception_fp_ieee_underflow 0
		.amdhsa_exception_fp_ieee_inexact 0
		.amdhsa_exception_int_div_zero 0
	.end_amdhsa_kernel
	.section	.text._ZN2at6native12_GLOBAL__N_121max_pool_forward_nhwcIN3c108BFloat16EiEEvPKT_iT0_S8_S8_S8_S8_iiiiiiiiS8_S8_S8_S8_iiPS5_Pl,"axG",@progbits,_ZN2at6native12_GLOBAL__N_121max_pool_forward_nhwcIN3c108BFloat16EiEEvPKT_iT0_S8_S8_S8_S8_iiiiiiiiS8_S8_S8_S8_iiPS5_Pl,comdat
.Lfunc_end12:
	.size	_ZN2at6native12_GLOBAL__N_121max_pool_forward_nhwcIN3c108BFloat16EiEEvPKT_iT0_S8_S8_S8_S8_iiiiiiiiS8_S8_S8_S8_iiPS5_Pl, .Lfunc_end12-_ZN2at6native12_GLOBAL__N_121max_pool_forward_nhwcIN3c108BFloat16EiEEvPKT_iT0_S8_S8_S8_S8_iiiiiiiiS8_S8_S8_S8_iiPS5_Pl
                                        ; -- End function
	.section	.AMDGPU.csdata,"",@progbits
; Kernel info:
; codeLenInByte = 3272
; NumSgprs: 71
; NumVgprs: 46
; NumAgprs: 0
; TotalNumVgprs: 46
; ScratchSize: 0
; MemoryBound: 0
; FloatMode: 240
; IeeeMode: 1
; LDSByteSize: 0 bytes/workgroup (compile time only)
; SGPRBlocks: 8
; VGPRBlocks: 5
; NumSGPRsForWavesPerEU: 71
; NumVGPRsForWavesPerEU: 46
; AccumOffset: 48
; Occupancy: 8
; WaveLimiterHint : 1
; COMPUTE_PGM_RSRC2:SCRATCH_EN: 0
; COMPUTE_PGM_RSRC2:USER_SGPR: 6
; COMPUTE_PGM_RSRC2:TRAP_HANDLER: 0
; COMPUTE_PGM_RSRC2:TGID_X_EN: 1
; COMPUTE_PGM_RSRC2:TGID_Y_EN: 1
; COMPUTE_PGM_RSRC2:TGID_Z_EN: 1
; COMPUTE_PGM_RSRC2:TIDIG_COMP_CNT: 2
; COMPUTE_PGM_RSRC3_GFX90A:ACCUM_OFFSET: 11
; COMPUTE_PGM_RSRC3_GFX90A:TG_SPLIT: 0
	.section	.text._ZN2at6native12_GLOBAL__N_121max_pool_forward_nhwcIN3c108BFloat16ElEEvPKT_iT0_S8_S8_S8_S8_iiiiiiiiS8_S8_S8_S8_iiPS5_Pl,"axG",@progbits,_ZN2at6native12_GLOBAL__N_121max_pool_forward_nhwcIN3c108BFloat16ElEEvPKT_iT0_S8_S8_S8_S8_iiiiiiiiS8_S8_S8_S8_iiPS5_Pl,comdat
	.globl	_ZN2at6native12_GLOBAL__N_121max_pool_forward_nhwcIN3c108BFloat16ElEEvPKT_iT0_S8_S8_S8_S8_iiiiiiiiS8_S8_S8_S8_iiPS5_Pl ; -- Begin function _ZN2at6native12_GLOBAL__N_121max_pool_forward_nhwcIN3c108BFloat16ElEEvPKT_iT0_S8_S8_S8_S8_iiiiiiiiS8_S8_S8_S8_iiPS5_Pl
	.p2align	8
	.type	_ZN2at6native12_GLOBAL__N_121max_pool_forward_nhwcIN3c108BFloat16ElEEvPKT_iT0_S8_S8_S8_S8_iiiiiiiiS8_S8_S8_S8_iiPS5_Pl,@function
_ZN2at6native12_GLOBAL__N_121max_pool_forward_nhwcIN3c108BFloat16ElEEvPKT_iT0_S8_S8_S8_S8_iiiiiiiiS8_S8_S8_S8_iiPS5_Pl: ; @_ZN2at6native12_GLOBAL__N_121max_pool_forward_nhwcIN3c108BFloat16ElEEvPKT_iT0_S8_S8_S8_S8_iiiiiiiiS8_S8_S8_S8_iiPS5_Pl
; %bb.0:
	s_load_dwordx4 s[0:3], s[4:5], 0x94
	s_load_dwordx2 s[12:13], s[4:5], 0x78
	v_bfe_u32 v6, v0, 10, 10
	v_bfe_u32 v7, v0, 20, 10
	v_and_b32_e32 v4, 0x3ff, v0
	s_waitcnt lgkmcnt(0)
	s_and_b32 s14, s2, 0xffff
	s_lshr_b32 s62, s2, 16
	s_mul_i32 s9, s14, s13
	s_and_b32 s33, s3, 0xffff
	s_mul_i32 s15, s9, s62
	v_mad_u32_u24 v5, v7, s62, v6
	s_mul_i32 s15, s15, s33
	v_mad_u64_u32 v[0:1], s[2:3], v5, s14, v[4:5]
	v_cmp_gt_u32_e32 vcc, s15, v0
	s_and_saveexec_b64 s[2:3], vcc
	s_cbranch_execz .LBB13_3
; %bb.1:
	s_mul_i32 s16, s62, s14
	s_lshl_b32 s10, s15, 3
	s_mul_i32 s16, s16, s33
	s_add_i32 s10, s10, 0
	v_mov_b32_e32 v2, 0
	v_lshl_add_u32 v1, v0, 1, s10
	s_lshl_b32 s17, s16, 1
	v_lshl_add_u32 v8, v0, 3, 0
	s_lshl_b32 s18, s16, 3
	s_mov_b64 s[10:11], 0
	v_mov_b32_e32 v9, 0xffffff80
	v_mov_b32_e32 v3, v2
.LBB13_2:                               ; =>This Inner Loop Header: Depth=1
	v_add_u32_e32 v0, s16, v0
	v_cmp_le_u32_e32 vcc, s15, v0
	ds_write_b16 v1, v9
	ds_write_b64 v8, v[2:3]
	v_add_u32_e32 v1, s17, v1
	s_or_b64 s[10:11], vcc, s[10:11]
	v_add_u32_e32 v8, s18, v8
	s_andn2_b64 exec, exec, s[10:11]
	s_cbranch_execnz .LBB13_2
.LBB13_3:
	s_or_b64 exec, exec, s[2:3]
	v_cvt_f32_u32_e32 v0, s1
	s_load_dword s2, s[4:5], 0x8
	s_load_dwordx8 s[20:27], s[4:5], 0x10
	s_sub_i32 s10, 0, s1
	s_mov_b32 s19, 0
	v_rcp_iflag_f32_e32 v0, v0
	s_waitcnt lgkmcnt(0)
	v_cvt_f32_u32_e32 v1, s2
	s_add_i32 s3, s26, s1
	s_add_i32 s11, s3, -1
	v_mul_f32_e32 v0, 0x4f7ffffe, v0
	v_cvt_u32_f32_e32 v0, v0
	v_rcp_iflag_f32_e32 v1, v1
	s_barrier
	v_readfirstlane_b32 s16, v0
	s_mul_i32 s10, s10, s16
	s_mul_hi_u32 s10, s16, s10
	v_cvt_f32_u32_e32 v0, s0
	s_add_i32 s16, s16, s10
	s_mul_hi_u32 s10, s11, s16
	s_mul_i32 s16, s10, s1
	s_sub_i32 s11, s11, s16
	v_rcp_iflag_f32_e32 v0, v0
	s_add_i32 s16, s10, 1
	s_sub_i32 s17, s11, s1
	s_cmp_ge_u32 s11, s1
	s_cselect_b32 s10, s16, s10
	s_cselect_b32 s11, s17, s11
	v_mul_f32_e32 v0, 0x4f7ffffe, v0
	s_add_i32 s16, s10, 1
	v_cvt_u32_f32_e32 v0, v0
	s_cmp_ge_u32 s11, s1
	v_mul_f32_e32 v1, 0x4f7ffffe, v1
	s_cselect_b32 s10, s16, s10
	v_cvt_u32_f32_e32 v1, v1
	s_mul_i32 s8, s10, s8
	v_add_u32_e32 v17, s8, v7
	v_readfirstlane_b32 s1, v0
	v_add_u32_e32 v0, s10, v17
	v_min_i32_e32 v34, s26, v0
	v_readfirstlane_b32 s3, v1
	v_cmp_lt_i32_e32 vcc, v17, v34
	s_and_saveexec_b64 s[10:11], vcc
	s_cbranch_execz .LBB13_78
; %bb.4:
	s_sub_i32 s8, 0, s2
	s_mul_i32 s8, s8, s3
	s_load_dwordx2 s[28:29], s[4:5], 0x30
	s_load_dwordx2 s[10:11], s[4:5], 0x0
	s_mul_hi_u32 s8, s3, s8
	s_sub_i32 s16, 0, s0
	s_add_i32 s3, s3, s8
	s_mul_i32 s16, s16, s1
	s_mul_hi_u32 s3, s6, s3
	s_mul_hi_u32 s16, s1, s16
	s_add_i32 s1, s1, s16
	s_mul_i32 s16, s3, s2
	s_waitcnt lgkmcnt(0)
	s_add_i32 s8, s28, s0
	s_lshl_b32 s15, s15, 3
	s_sub_i32 s16, s6, s16
	s_add_i32 s8, s8, -1
	s_add_i32 s15, s15, 0
	s_add_i32 s17, s3, 1
	s_sub_i32 s18, s16, s2
	s_cmp_ge_u32 s16, s2
	s_cselect_b32 s3, s17, s3
	s_load_dwordx8 s[36:43], s[4:5], 0x58
	s_cselect_b32 s16, s18, s16
	s_add_i32 s17, s3, 1
	s_cmp_ge_u32 s16, s2
	s_cselect_b32 s16, s17, s3
	s_mul_i32 s2, s16, s2
	s_sub_i32 s17, s6, s2
	s_ashr_i32 s52, s17, 31
	s_waitcnt lgkmcnt(0)
	s_mul_i32 s2, s17, s37
	s_mul_hi_u32 s3, s17, s36
	s_add_i32 s2, s3, s2
	s_mul_i32 s3, s52, s36
	s_add_i32 s3, s2, s3
	s_mul_i32 s2, s17, s36
	s_mul_hi_u32 s1, s8, s1
	s_lshl_b64 s[2:3], s[2:3], 1
	s_add_u32 s63, s10, s2
	s_mul_i32 s2, s1, s0
	s_addc_u32 s64, s11, s3
	s_sub_i32 s2, s8, s2
	s_add_i32 s3, s1, 1
	s_sub_i32 s6, s2, s0
	s_cmp_ge_u32 s2, s0
	s_cselect_b32 s1, s3, s1
	s_load_dwordx8 s[44:51], s[4:5], 0x38
	s_cselect_b32 s2, s6, s2
	s_add_i32 s3, s1, 1
	s_cmp_ge_u32 s2, s0
	s_cselect_b32 s0, s3, s1
	s_mul_i32 s1, s0, s7
	v_mul_lo_u32 v0, s9, v5
	v_add_u32_e32 v35, s1, v6
	v_lshlrev_b32_e32 v8, 1, v0
	v_lshlrev_b32_e32 v9, 3, v0
	v_add_u32_e32 v0, s0, v35
	s_waitcnt lgkmcnt(0)
	s_add_i32 s0, s44, -1
	s_add_i32 s2, s45, -1
	s_mul_i32 s0, s0, s50
	s_mul_i32 s2, s2, s51
	s_add_i32 s67, s0, 1
	s_add_i32 s71, s2, 1
	s_ashr_i32 s65, s48, 31
	s_ashr_i32 s68, s67, 31
	s_ashr_i32 s69, s49, 31
	s_ashr_i32 s72, s71, 31
	s_ashr_i32 s31, s50, 31
	s_ashr_i32 s73, s51, 31
	s_max_i32 s2, s44, s45
	s_cmp_lt_i32 s2, 4
	s_mul_i32 s18, s14, s12
	v_pk_mov_b32 v[2:3], s[20:21], s[20:21] op_sel:[0,1]
	s_mul_i32 s16, s16, s14
	s_mov_b32 s30, s50
	s_cselect_b64 s[2:3], -1, 0
	v_cmp_ge_i64_e32 vcc, s[18:19], v[2:3]
	v_min_i32_e32 v36, s28, v0
	v_add_u32_e32 v0, s16, v4
	s_and_b64 s[34:35], s[2:3], vcc
	s_ashr_i32 s16, s12, 31
	v_cmp_gt_u64_e64 s[6:7], s[30:31], 1
	s_and_b64 s[6:7], s[6:7], exec
	s_cselect_b32 s75, s31, 0
	s_cselect_b32 s76, s50, 1
	s_add_u32 s6, s49, s51
	v_ashrrev_i32_e32 v1, 31, v0
	s_addc_u32 s7, s69, s73
	s_load_dwordx4 s[8:11], s[4:5], 0x80
	v_mul_lo_u32 v6, v1, s38
	v_mul_lo_u32 v7, v0, s39
	v_mad_u64_u32 v[2:3], s[4:5], v0, s38, 0
	s_sub_u32 s44, 0, s6
	v_add3_u32 v3, v3, v7, v6
	s_subb_u32 s45, 0, s7
	s_mul_hi_u32 s6, s38, s12
	s_mul_i32 s7, s38, s16
	v_lshlrev_b64 v[6:7], 1, v[2:3]
	s_add_i32 s6, s6, s7
	s_mul_i32 s7, s39, s12
	v_mov_b32_e32 v10, s64
	v_add_co_u32_e32 v37, vcc, s63, v6
	s_add_i32 s6, s6, s7
	s_mul_i32 s7, s38, s12
	v_addc_co_u32_e32 v38, vcc, v10, v7, vcc
	s_mul_hi_i32 s19, s14, s12
	s_mul_i32 s6, s6, s14
	s_mul_hi_u32 s12, s7, s14
	v_lshlrev_b32_e32 v7, 1, v5
	v_mul_lo_u32 v5, s13, v5
	s_add_i32 s77, s12, s6
	s_mul_i32 s6, s62, s33
	v_mul_lo_u32 v5, v5, s14
	v_lshlrev_b32_e32 v6, 1, v4
	v_lshlrev_b32_e32 v4, 3, v4
	v_lshl_add_u32 v7, s6, 3, v7
	v_lshlrev_b32_e32 v5, 3, v5
	v_add3_u32 v40, 0, v9, v4
	s_mul_i32 s78, s7, s14
	v_mul_lo_u32 v7, s13, v7
	v_add3_u32 v42, v5, v4, 0
	v_lshlrev_b64 v[4:5], 3, v[0:1]
	s_mul_i32 s6, s28, s27
	s_mul_hi_u32 s7, s28, s26
	v_mul_lo_u32 v7, v7, s14
	s_waitcnt lgkmcnt(0)
	v_add_co_u32_e32 v4, vcc, s10, v4
	s_add_i32 s6, s7, s6
	s_mul_i32 s7, s29, s26
	s_mul_i32 s10, s28, s26
	v_add3_u32 v39, s15, v8, v6
	v_add3_u32 v41, v7, v6, 0
	v_mov_b32_e32 v6, s11
	s_add_i32 s6, s6, s7
	s_mul_i32 s7, s10, s52
	s_mul_hi_u32 s11, s10, s17
	v_addc_co_u32_e32 v5, vcc, v6, v5, vcc
	s_add_i32 s7, s11, s7
	s_mul_i32 s6, s6, s17
	v_lshlrev_b64 v[6:7], 1, v[0:1]
	s_add_i32 s7, s7, s6
	s_mul_i32 s6, s10, s17
	v_mov_b32_e32 v8, s9
	v_add_co_u32_e32 v6, vcc, s8, v6
	s_mov_b32 s66, s48
	v_cmp_lt_i32_e64 s[0:1], v35, v36
	s_mov_b32 s70, s49
	s_mov_b32 s74, s51
	v_cmp_le_i64_e64 s[2:3], s[20:21], v[0:1]
	v_cmp_gt_i64_e64 s[4:5], s[20:21], v[0:1]
	s_mov_b64 s[36:37], 0
	s_lshl_b32 s79, s14, 1
	s_lshl_b32 s80, s14, 3
	s_lshl_b64 s[26:27], s[6:7], 3
	s_lshl_b64 s[38:39], s[18:19], 3
	v_addc_co_u32_e32 v7, vcc, v8, v7, vcc
	s_lshl_b64 s[48:49], s[6:7], 1
	s_lshl_b64 s[52:53], s[18:19], 1
	v_mov_b32_e32 v8, 0
	v_mov_b32_e32 v43, 0xffffff80
	s_branch .LBB13_6
.LBB13_5:                               ;   in Loop: Header=BB13_6 Depth=1
	s_or_b64 exec, exec, s[54:55]
	v_add_u32_e32 v17, s33, v17
	v_cmp_ge_i32_e32 vcc, v17, v34
	s_or_b64 s[36:37], vcc, s[36:37]
	s_andn2_b64 exec, exec, s[36:37]
	s_cbranch_execz .LBB13_78
.LBB13_6:                               ; =>This Loop Header: Depth=1
                                        ;     Child Loop BB13_9 Depth 2
                                        ;       Child Loop BB13_14 Depth 3
                                        ;       Child Loop BB13_67 Depth 3
                                        ;         Child Loop BB13_70 Depth 4
                                        ;           Child Loop BB13_73 Depth 5
                                        ;       Child Loop BB13_77 Depth 3
	s_and_saveexec_b64 s[54:55], s[0:1]
	s_cbranch_execz .LBB13_5
; %bb.7:                                ;   in Loop: Header=BB13_6 Depth=1
	v_ashrrev_i32_e32 v9, 31, v17
	v_mul_lo_u32 v12, s29, v17
	v_mul_lo_u32 v9, s28, v9
	v_mad_u64_u32 v[10:11], s[6:7], s28, v17, 0
	v_add3_u32 v11, v11, v9, v12
	v_mad_i64_i32 v[12:13], s[6:7], v17, s46, 0
	v_mov_b32_e32 v9, s65
	v_subrev_co_u32_e32 v12, vcc, s66, v12
	v_subb_co_u32_e32 v13, vcc, v13, v9, vcc
	v_mov_b32_e32 v9, s68
	v_add_co_u32_e32 v14, vcc, s67, v12
	v_addc_co_u32_e32 v15, vcc, v13, v9, vcc
	v_mov_b32_e32 v9, s23
	v_cmp_gt_i64_e32 vcc, s[22:23], v[14:15]
	v_cndmask_b32_e32 v15, v9, v15, vcc
	v_mov_b32_e32 v9, s22
	v_cndmask_b32_e32 v14, v9, v14, vcc
	s_mov_b64 s[56:57], 0
	v_mov_b32_e32 v16, v35
	s_branch .LBB13_9
.LBB13_8:                               ;   in Loop: Header=BB13_9 Depth=2
	s_or_b64 exec, exec, s[6:7]
	v_add_u32_e32 v16, s62, v16
	v_cmp_ge_i32_e32 vcc, v16, v36
	s_or_b64 s[56:57], vcc, s[56:57]
	s_andn2_b64 exec, exec, s[56:57]
	s_cbranch_execz .LBB13_5
.LBB13_9:                               ;   Parent Loop BB13_6 Depth=1
                                        ; =>  This Loop Header: Depth=2
                                        ;       Child Loop BB13_14 Depth 3
                                        ;       Child Loop BB13_67 Depth 3
                                        ;         Child Loop BB13_70 Depth 4
                                        ;           Child Loop BB13_73 Depth 5
                                        ;       Child Loop BB13_77 Depth 3
	v_cmp_lt_i64_e32 vcc, 0, v[12:13]
	v_lshrrev_b32_e32 v20, 31, v13
	v_cndmask_b32_e32 v9, 0, v13, vcc
	v_cndmask_b32_e32 v18, 0, v12, vcc
	v_add_co_u32_e32 v19, vcc, v12, v20
	v_addc_co_u32_e32 v21, vcc, 0, v13, vcc
	v_sub_co_u32_e32 v18, vcc, v18, v19
	v_subb_co_u32_e32 v19, vcc, v9, v21, vcc
	v_or_b32_e32 v9, s75, v19
	v_cmp_ne_u64_e32 vcc, 0, v[8:9]
                                        ; implicit-def: $vgpr22_vgpr23
	s_and_saveexec_b64 s[6:7], vcc
	s_xor_b64 s[8:9], exec, s[6:7]
	s_cbranch_execz .LBB13_11
; %bb.10:                               ;   in Loop: Header=BB13_9 Depth=2
	v_cvt_f32_u32_e32 v9, s76
	v_cvt_f32_u32_e32 v21, s75
	s_sub_u32 s6, 0, s76
	s_subb_u32 s7, 0, s75
	v_mac_f32_e32 v9, 0x4f800000, v21
	v_rcp_f32_e32 v9, v9
	v_mul_f32_e32 v9, 0x5f7ffffc, v9
	v_mul_f32_e32 v21, 0x2f800000, v9
	v_trunc_f32_e32 v21, v21
	v_mac_f32_e32 v9, 0xcf800000, v21
	v_cvt_u32_f32_e32 v21, v21
	v_cvt_u32_f32_e32 v9, v9
	v_mul_lo_u32 v22, s6, v21
	v_mul_hi_u32 v24, s6, v9
	v_mul_lo_u32 v23, s7, v9
	v_add_u32_e32 v22, v24, v22
	v_mul_lo_u32 v25, s6, v9
	v_add_u32_e32 v22, v22, v23
	v_mul_hi_u32 v24, v9, v25
	v_mul_lo_u32 v26, v9, v22
	v_mul_hi_u32 v23, v9, v22
	v_add_co_u32_e32 v24, vcc, v24, v26
	v_addc_co_u32_e32 v23, vcc, 0, v23, vcc
	v_mul_hi_u32 v27, v21, v25
	v_mul_lo_u32 v25, v21, v25
	v_add_co_u32_e32 v24, vcc, v24, v25
	v_mul_hi_u32 v26, v21, v22
	v_addc_co_u32_e32 v23, vcc, v23, v27, vcc
	v_addc_co_u32_e32 v24, vcc, 0, v26, vcc
	v_mul_lo_u32 v22, v21, v22
	v_add_co_u32_e32 v22, vcc, v23, v22
	v_addc_co_u32_e32 v23, vcc, 0, v24, vcc
	v_add_co_u32_e32 v9, vcc, v9, v22
	v_addc_co_u32_e32 v21, vcc, v21, v23, vcc
	v_mul_lo_u32 v22, s6, v21
	v_mul_hi_u32 v23, s6, v9
	v_add_u32_e32 v22, v23, v22
	v_mul_lo_u32 v23, s7, v9
	v_add_u32_e32 v22, v22, v23
	v_mul_lo_u32 v24, s6, v9
	v_mul_hi_u32 v25, v21, v24
	v_mul_lo_u32 v26, v21, v24
	v_mul_lo_u32 v28, v9, v22
	v_mul_hi_u32 v24, v9, v24
	v_mul_hi_u32 v27, v9, v22
	v_add_co_u32_e32 v24, vcc, v24, v28
	v_addc_co_u32_e32 v27, vcc, 0, v27, vcc
	v_add_co_u32_e32 v24, vcc, v24, v26
	v_mul_hi_u32 v23, v21, v22
	v_addc_co_u32_e32 v24, vcc, v27, v25, vcc
	v_addc_co_u32_e32 v23, vcc, 0, v23, vcc
	v_mul_lo_u32 v22, v21, v22
	v_add_co_u32_e32 v22, vcc, v24, v22
	v_addc_co_u32_e32 v23, vcc, 0, v23, vcc
	v_add_co_u32_e32 v9, vcc, v9, v22
	v_addc_co_u32_e32 v21, vcc, v21, v23, vcc
	v_mad_u64_u32 v[22:23], s[6:7], v18, v21, 0
	v_mul_hi_u32 v24, v18, v9
	v_add_co_u32_e32 v26, vcc, v24, v22
	v_addc_co_u32_e32 v27, vcc, 0, v23, vcc
	v_mad_u64_u32 v[24:25], s[6:7], v19, v9, 0
	v_add_co_u32_e32 v9, vcc, v26, v24
	v_mad_u64_u32 v[22:23], s[6:7], v19, v21, 0
	v_addc_co_u32_e32 v9, vcc, v27, v25, vcc
	v_addc_co_u32_e32 v21, vcc, 0, v23, vcc
	v_add_co_u32_e32 v9, vcc, v9, v22
	v_addc_co_u32_e32 v21, vcc, 0, v21, vcc
	v_mul_lo_u32 v24, s75, v9
	v_mul_lo_u32 v25, s76, v21
	v_mad_u64_u32 v[22:23], s[6:7], s76, v9, 0
	v_add3_u32 v23, v23, v25, v24
	v_sub_u32_e32 v24, v19, v23
	v_mov_b32_e32 v25, s75
	v_sub_co_u32_e32 v18, vcc, v18, v22
	v_subb_co_u32_e64 v22, s[6:7], v24, v25, vcc
	v_subrev_co_u32_e64 v24, s[6:7], s76, v18
	v_subbrev_co_u32_e64 v22, s[6:7], 0, v22, s[6:7]
	v_cmp_le_u32_e64 s[6:7], s75, v22
	v_cndmask_b32_e64 v25, 0, -1, s[6:7]
	v_cmp_le_u32_e64 s[6:7], s76, v24
	v_cndmask_b32_e64 v24, 0, -1, s[6:7]
	v_cmp_eq_u32_e64 s[6:7], s75, v22
	v_cndmask_b32_e64 v22, v25, v24, s[6:7]
	v_add_co_u32_e64 v24, s[6:7], 2, v9
	v_subb_co_u32_e32 v19, vcc, v19, v23, vcc
	v_addc_co_u32_e64 v25, s[6:7], 0, v21, s[6:7]
	v_cmp_le_u32_e32 vcc, s75, v19
	v_add_co_u32_e64 v26, s[6:7], 1, v9
	v_cndmask_b32_e64 v23, 0, -1, vcc
	v_cmp_le_u32_e32 vcc, s76, v18
	v_addc_co_u32_e64 v27, s[6:7], 0, v21, s[6:7]
	v_cndmask_b32_e64 v18, 0, -1, vcc
	v_cmp_eq_u32_e32 vcc, s75, v19
	v_cmp_ne_u32_e64 s[6:7], 0, v22
	v_cndmask_b32_e32 v18, v23, v18, vcc
	v_cndmask_b32_e64 v22, v27, v25, s[6:7]
	v_cmp_ne_u32_e32 vcc, 0, v18
	v_cndmask_b32_e64 v18, v26, v24, s[6:7]
	v_cndmask_b32_e32 v23, v21, v22, vcc
	v_cndmask_b32_e32 v22, v9, v18, vcc
                                        ; implicit-def: $vgpr18
.LBB13_11:                              ;   in Loop: Header=BB13_9 Depth=2
	s_andn2_saveexec_b64 s[6:7], s[8:9]
	s_cbranch_execz .LBB13_13
; %bb.12:                               ;   in Loop: Header=BB13_9 Depth=2
	v_cvt_f32_u32_e32 v9, s76
	s_sub_i32 s8, 0, s76
	v_mov_b32_e32 v23, v8
	v_rcp_iflag_f32_e32 v9, v9
	v_mul_f32_e32 v9, 0x4f7ffffe, v9
	v_cvt_u32_f32_e32 v9, v9
	v_mul_lo_u32 v19, s8, v9
	v_mul_hi_u32 v19, v9, v19
	v_add_u32_e32 v9, v9, v19
	v_mul_hi_u32 v9, v18, v9
	v_mul_lo_u32 v19, v9, s76
	v_sub_u32_e32 v18, v18, v19
	v_add_u32_e32 v21, 1, v9
	v_subrev_u32_e32 v19, s76, v18
	v_cmp_le_u32_e32 vcc, s76, v18
	v_cndmask_b32_e32 v18, v18, v19, vcc
	v_cndmask_b32_e32 v9, v9, v21, vcc
	v_add_u32_e32 v19, 1, v9
	v_cmp_le_u32_e32 vcc, s76, v18
	v_cndmask_b32_e32 v22, v9, v19, vcc
.LBB13_13:                              ;   in Loop: Header=BB13_9 Depth=2
	s_or_b64 exec, exec, s[6:7]
	v_pk_mov_b32 v[18:19], s[44:45], s[44:45] op_sel:[0,1]
	v_mad_i64_i32 v[24:25], s[6:7], s47, v16, 0
	v_mad_i64_i32 v[18:19], s[6:7], s47, v16, v[18:19]
	v_ashrrev_i32_e32 v9, 31, v16
	s_mov_b64 s[6:7], 0
.LBB13_14:                              ;   Parent Loop BB13_6 Depth=1
                                        ;     Parent Loop BB13_9 Depth=2
                                        ; =>    This Inner Loop Header: Depth=3
	v_mov_b32_e32 v21, s73
	v_add_co_u32_e32 v18, vcc, s74, v18
	v_addc_co_u32_e32 v19, vcc, v19, v21, vcc
	v_cmp_lt_i64_e32 vcc, -1, v[18:19]
	s_or_b64 s[6:7], vcc, s[6:7]
	s_andn2_b64 exec, exec, s[6:7]
	s_cbranch_execnz .LBB13_14
; %bb.15:                               ;   in Loop: Header=BB13_9 Depth=2
	s_or_b64 exec, exec, s[6:7]
	v_mov_b32_e32 v21, s69
	v_subrev_co_u32_e32 v24, vcc, s70, v24
	v_subb_co_u32_e32 v21, vcc, v25, v21, vcc
	v_mov_b32_e32 v25, s72
	v_add_co_u32_e32 v24, vcc, s71, v24
	v_addc_co_u32_e32 v25, vcc, v21, v25, vcc
	v_add_co_u32_e32 v22, vcc, v20, v22
	v_addc_co_u32_e32 v23, vcc, 0, v23, vcc
	v_mov_b32_e32 v20, s25
	v_cmp_gt_i64_e32 vcc, s[24:25], v[24:25]
	v_cndmask_b32_e32 v21, v20, v25, vcc
	v_mov_b32_e32 v20, s24
	v_cndmask_b32_e32 v20, v20, v24, vcc
	v_mul_lo_u32 v24, v22, s31
	v_mul_lo_u32 v23, v23, s30
	v_mad_u64_u32 v[12:13], s[6:7], v22, s30, v[12:13]
	v_add3_u32 v13, v23, v13, v24
	s_mov_b64 s[6:7], -1
	s_and_b64 vcc, exec, s[34:35]
	s_cbranch_vccnz .LBB13_18
; %bb.16:                               ;   in Loop: Header=BB13_9 Depth=2
	s_and_b64 vcc, exec, s[6:7]
	s_cbranch_vccnz .LBB13_64
.LBB13_17:                              ;   in Loop: Header=BB13_9 Depth=2
	s_and_saveexec_b64 s[6:7], s[4:5]
	s_cbranch_execz .LBB13_8
	s_branch .LBB13_76
.LBB13_18:                              ;   in Loop: Header=BB13_9 Depth=2
	v_ashrrev_i32_e32 v29, 31, v12
	v_mul_lo_u32 v24, v12, s41
	v_mul_lo_u32 v25, v29, s40
	v_mad_u64_u32 v[22:23], s[6:7], v12, s40, 0
	v_add3_u32 v23, v23, v24, v25
	v_lshlrev_b64 v[22:23], 1, v[22:23]
	v_add_co_u32_e64 v30, s[6:7], v37, v22
	v_mov_b32_e32 v28, v12
	v_addc_co_u32_e64 v31, s[6:7], v38, v23, s[6:7]
	v_ashrrev_i32_e32 v23, 31, v18
	v_mov_b32_e32 v22, v18
	v_cmp_le_i64_e32 vcc, v[14:15], v[28:29]
	v_cmp_le_i64_e64 s[10:11], v[20:21], v[22:23]
	s_or_b64 s[6:7], vcc, s[10:11]
	s_or_b64 s[6:7], s[6:7], s[2:3]
	s_xor_b64 s[6:7], s[6:7], -1
	v_mov_b32_e32 v44, 0
	v_mul_lo_u32 v48, v23, s42
	v_mul_lo_u32 v53, v22, s43
	v_mov_b32_e32 v49, 0
	s_and_saveexec_b64 s[8:9], s[6:7]
	s_cbranch_execz .LBB13_20
; %bb.19:                               ;   in Loop: Header=BB13_9 Depth=2
	v_mad_u64_u32 v[24:25], s[6:7], v22, s42, 0
	v_add3_u32 v25, v25, v53, v48
	v_lshlrev_b64 v[24:25], 1, v[24:25]
	v_add_co_u32_e64 v24, s[6:7], v30, v24
	v_addc_co_u32_e64 v25, s[6:7], v31, v25, s[6:7]
	global_load_ushort v49, v[24:25], off
.LBB13_20:                              ;   in Loop: Header=BB13_9 Depth=2
	s_or_b64 exec, exec, s[8:9]
	v_add_u32_e32 v24, s51, v18
	v_ashrrev_i32_e32 v25, 31, v24
	v_cmp_le_i64_e64 s[12:13], v[20:21], v[24:25]
	s_or_b64 s[6:7], vcc, s[12:13]
	s_or_b64 s[6:7], s[6:7], s[2:3]
	s_xor_b64 s[6:7], s[6:7], -1
	v_mul_lo_u32 v54, v25, s42
	v_mul_lo_u32 v55, v24, s43
	s_and_saveexec_b64 s[8:9], s[6:7]
	s_cbranch_execz .LBB13_22
; %bb.21:                               ;   in Loop: Header=BB13_9 Depth=2
	v_mad_u64_u32 v[26:27], s[6:7], v24, s42, 0
	v_add3_u32 v27, v27, v55, v54
	v_lshlrev_b64 v[26:27], 1, v[26:27]
	v_add_co_u32_e64 v26, s[6:7], v30, v26
	v_addc_co_u32_e64 v27, s[6:7], v31, v27, s[6:7]
	global_load_ushort v44, v[26:27], off
.LBB13_22:                              ;   in Loop: Header=BB13_9 Depth=2
	s_or_b64 exec, exec, s[8:9]
	v_add_u32_e32 v26, s51, v24
	v_ashrrev_i32_e32 v27, 31, v26
	v_cmp_le_i64_e64 s[14:15], v[20:21], v[26:27]
	s_or_b64 s[6:7], vcc, s[14:15]
	s_or_b64 s[6:7], s[6:7], s[2:3]
	s_xor_b64 s[6:7], s[6:7], -1
	v_mov_b32_e32 v45, 0
	v_mul_lo_u32 v56, v27, s42
	v_mul_lo_u32 v57, v26, s43
	v_mov_b32_e32 v50, 0
	s_and_saveexec_b64 s[8:9], s[6:7]
	s_cbranch_execz .LBB13_24
; %bb.23:                               ;   in Loop: Header=BB13_9 Depth=2
	v_mad_u64_u32 v[32:33], s[6:7], v26, s42, 0
	v_add3_u32 v33, v33, v57, v56
	v_lshlrev_b64 v[32:33], 1, v[32:33]
	v_add_co_u32_e64 v30, s[6:7], v30, v32
	v_addc_co_u32_e64 v31, s[6:7], v31, v33, s[6:7]
	global_load_ushort v50, v[30:31], off
.LBB13_24:                              ;   in Loop: Header=BB13_9 Depth=2
	s_or_b64 exec, exec, s[8:9]
	v_add_u32_e32 v32, s50, v12
	v_ashrrev_i32_e32 v33, 31, v32
	v_mul_lo_u32 v46, v33, s40
	v_mul_lo_u32 v47, v32, s41
	v_mad_u64_u32 v[30:31], s[6:7], v32, s40, 0
	v_add3_u32 v31, v31, v47, v46
	v_lshlrev_b64 v[30:31], 1, v[30:31]
	v_add_co_u32_e64 v30, s[6:7], v37, v30
	v_cmp_le_i64_e64 s[8:9], v[14:15], v[32:33]
	v_addc_co_u32_e64 v31, s[6:7], v38, v31, s[6:7]
	s_or_b64 s[6:7], s[8:9], s[10:11]
	s_or_b64 s[6:7], s[6:7], s[2:3]
	s_xor_b64 s[6:7], s[6:7], -1
	s_and_saveexec_b64 s[16:17], s[6:7]
	s_cbranch_execz .LBB13_26
; %bb.25:                               ;   in Loop: Header=BB13_9 Depth=2
	v_mad_u64_u32 v[46:47], s[6:7], v22, s42, 0
	v_add3_u32 v47, v47, v53, v48
	v_lshlrev_b64 v[46:47], 1, v[46:47]
	v_add_co_u32_e64 v46, s[6:7], v30, v46
	v_addc_co_u32_e64 v47, s[6:7], v31, v47, s[6:7]
	global_load_ushort v45, v[46:47], off
.LBB13_26:                              ;   in Loop: Header=BB13_9 Depth=2
	s_or_b64 exec, exec, s[16:17]
	s_or_b64 s[6:7], s[8:9], s[12:13]
	s_or_b64 s[6:7], s[6:7], s[2:3]
	s_xor_b64 s[6:7], s[6:7], -1
	v_mov_b32_e32 v46, 0
	v_mov_b32_e32 v51, 0
	s_and_saveexec_b64 s[16:17], s[6:7]
	s_cbranch_execz .LBB13_28
; %bb.27:                               ;   in Loop: Header=BB13_9 Depth=2
	v_mad_u64_u32 v[58:59], s[6:7], v24, s42, 0
	v_add3_u32 v59, v59, v55, v54
	v_lshlrev_b64 v[58:59], 1, v[58:59]
	v_add_co_u32_e64 v58, s[6:7], v30, v58
	v_addc_co_u32_e64 v59, s[6:7], v31, v59, s[6:7]
	global_load_ushort v51, v[58:59], off
.LBB13_28:                              ;   in Loop: Header=BB13_9 Depth=2
	s_or_b64 exec, exec, s[16:17]
	s_or_b64 s[6:7], s[8:9], s[14:15]
	s_or_b64 s[6:7], s[6:7], s[2:3]
	s_xor_b64 s[6:7], s[6:7], -1
	s_and_saveexec_b64 s[16:17], s[6:7]
	s_cbranch_execz .LBB13_30
; %bb.29:                               ;   in Loop: Header=BB13_9 Depth=2
	v_mad_u64_u32 v[46:47], s[6:7], v26, s42, 0
	v_add3_u32 v47, v47, v57, v56
	v_lshlrev_b64 v[46:47], 1, v[46:47]
	v_add_co_u32_e64 v30, s[6:7], v30, v46
	v_addc_co_u32_e64 v31, s[6:7], v31, v47, s[6:7]
	global_load_ushort v46, v[30:31], off
.LBB13_30:                              ;   in Loop: Header=BB13_9 Depth=2
	s_or_b64 exec, exec, s[16:17]
	v_add_u32_e32 v30, s50, v32
	v_ashrrev_i32_e32 v31, 31, v30
	v_mul_lo_u32 v47, v31, s40
	v_mul_lo_u32 v52, v30, s41
	v_mad_u64_u32 v[58:59], s[6:7], v30, s40, 0
	v_add3_u32 v59, v59, v52, v47
	v_lshlrev_b64 v[58:59], 1, v[58:59]
	v_add_co_u32_e64 v58, s[16:17], v37, v58
	v_cmp_le_i64_e64 s[6:7], v[14:15], v[30:31]
	v_addc_co_u32_e64 v59, s[16:17], v38, v59, s[16:17]
	s_or_b64 s[16:17], s[6:7], s[10:11]
	s_or_b64 s[16:17], s[16:17], s[2:3]
	s_xor_b64 s[16:17], s[16:17], -1
	v_mov_b32_e32 v47, 0
	v_mov_b32_e32 v52, 0
	s_and_saveexec_b64 s[58:59], s[16:17]
	s_cbranch_execz .LBB13_32
; %bb.31:                               ;   in Loop: Header=BB13_9 Depth=2
	v_mad_u64_u32 v[60:61], s[16:17], v22, s42, 0
	v_add3_u32 v61, v61, v53, v48
	v_lshlrev_b64 v[52:53], 1, v[60:61]
	v_add_co_u32_e64 v52, s[16:17], v58, v52
	v_addc_co_u32_e64 v53, s[16:17], v59, v53, s[16:17]
	global_load_ushort v52, v[52:53], off
.LBB13_32:                              ;   in Loop: Header=BB13_9 Depth=2
	s_or_b64 exec, exec, s[58:59]
	s_or_b64 s[16:17], s[6:7], s[12:13]
	s_or_b64 s[16:17], s[16:17], s[2:3]
	s_xor_b64 s[16:17], s[16:17], -1
	s_and_saveexec_b64 s[58:59], s[16:17]
	s_cbranch_execz .LBB13_34
; %bb.33:                               ;   in Loop: Header=BB13_9 Depth=2
	v_mad_u64_u32 v[60:61], s[16:17], v24, s42, 0
	v_add3_u32 v61, v61, v55, v54
	v_lshlrev_b64 v[54:55], 1, v[60:61]
	v_add_co_u32_e64 v54, s[16:17], v58, v54
	v_addc_co_u32_e64 v55, s[16:17], v59, v55, s[16:17]
	global_load_ushort v47, v[54:55], off
.LBB13_34:                              ;   in Loop: Header=BB13_9 Depth=2
	s_or_b64 exec, exec, s[58:59]
	s_or_b64 s[16:17], s[6:7], s[14:15]
	s_or_b64 s[16:17], s[16:17], s[2:3]
	s_xor_b64 s[16:17], s[16:17], -1
	v_mov_b32_e32 v48, 0
	s_and_saveexec_b64 s[58:59], s[16:17]
	s_cbranch_execz .LBB13_36
; %bb.35:                               ;   in Loop: Header=BB13_9 Depth=2
	v_mad_u64_u32 v[54:55], s[16:17], v26, s42, 0
	v_add3_u32 v55, v55, v57, v56
	v_lshlrev_b64 v[54:55], 1, v[54:55]
	v_add_co_u32_e64 v54, s[16:17], v58, v54
	v_addc_co_u32_e64 v55, s[16:17], v59, v55, s[16:17]
	global_load_ushort v48, v[54:55], off
.LBB13_36:                              ;   in Loop: Header=BB13_9 Depth=2
	s_or_b64 exec, exec, s[58:59]
	s_or_b64 s[58:59], s[2:3], s[10:11]
	v_mul_lo_u32 v53, v29, s24
	v_mul_lo_u32 v54, v28, s25
	v_mad_u64_u32 v[28:29], s[16:17], v28, s24, 0
	s_or_b64 s[10:11], vcc, s[58:59]
	v_add3_u32 v29, v29, v54, v53
	s_xor_b64 s[10:11], s[10:11], -1
	s_and_saveexec_b64 s[60:61], s[10:11]
	s_cbranch_execz .LBB13_39
; %bb.37:                               ;   in Loop: Header=BB13_9 Depth=2
	ds_read_u16 v53, v39
	s_waitcnt vmcnt(0)
	v_lshlrev_b32_e32 v54, 16, v49
	v_cmp_u_f32_e64 s[16:17], v54, v54
	s_waitcnt lgkmcnt(0)
	v_lshlrev_b32_e32 v53, 16, v53
	v_cmp_gt_f32_e64 s[10:11], v54, v53
	s_or_b64 s[10:11], s[16:17], s[10:11]
	s_and_b64 exec, exec, s[10:11]
	s_cbranch_execz .LBB13_39
; %bb.38:                               ;   in Loop: Header=BB13_9 Depth=2
	v_add_co_u32_e64 v54, s[10:11], v28, v22
	v_addc_co_u32_e64 v55, s[10:11], v29, v23, s[10:11]
	ds_write_b16 v39, v49
	ds_write_b64 v40, v[54:55]
.LBB13_39:                              ;   in Loop: Header=BB13_9 Depth=2
	s_or_b64 exec, exec, s[60:61]
	s_or_b64 s[16:17], s[2:3], s[12:13]
	s_or_b64 s[10:11], vcc, s[16:17]
	s_xor_b64 s[10:11], s[10:11], -1
	s_and_saveexec_b64 s[60:61], s[10:11]
	s_cbranch_execz .LBB13_42
; %bb.40:                               ;   in Loop: Header=BB13_9 Depth=2
	s_waitcnt vmcnt(0)
	ds_read_u16 v49, v39
	v_lshlrev_b32_e32 v53, 16, v44
	v_cmp_u_f32_e64 s[12:13], v53, v53
	s_waitcnt lgkmcnt(0)
	v_lshlrev_b32_e32 v49, 16, v49
	v_cmp_gt_f32_e64 s[10:11], v53, v49
	s_or_b64 s[10:11], s[12:13], s[10:11]
	s_and_b64 exec, exec, s[10:11]
	s_cbranch_execz .LBB13_42
; %bb.41:                               ;   in Loop: Header=BB13_9 Depth=2
	v_add_co_u32_e64 v54, s[10:11], v28, v24
	v_addc_co_u32_e64 v55, s[10:11], v29, v25, s[10:11]
	ds_write_b16 v39, v44
	ds_write_b64 v40, v[54:55]
.LBB13_42:                              ;   in Loop: Header=BB13_9 Depth=2
	s_or_b64 exec, exec, s[60:61]
	s_or_b64 s[12:13], s[2:3], s[14:15]
	s_or_b64 s[10:11], vcc, s[12:13]
	s_xor_b64 s[10:11], s[10:11], -1
	s_and_saveexec_b64 s[14:15], s[10:11]
	s_cbranch_execz .LBB13_45
; %bb.43:                               ;   in Loop: Header=BB13_9 Depth=2
	s_waitcnt vmcnt(0)
	ds_read_u16 v44, v39
	v_lshlrev_b32_e32 v49, 16, v50
	v_cmp_u_f32_e64 s[10:11], v49, v49
	s_waitcnt lgkmcnt(0)
	v_lshlrev_b32_e32 v44, 16, v44
	v_cmp_gt_f32_e32 vcc, v49, v44
	s_or_b64 s[10:11], s[10:11], vcc
	s_and_b64 exec, exec, s[10:11]
	s_cbranch_execz .LBB13_45
; %bb.44:                               ;   in Loop: Header=BB13_9 Depth=2
	v_add_co_u32_e32 v28, vcc, v28, v26
	v_addc_co_u32_e32 v29, vcc, v29, v27, vcc
	ds_write_b16 v39, v50
	ds_write_b64 v40, v[28:29]
.LBB13_45:                              ;   in Loop: Header=BB13_9 Depth=2
	s_or_b64 exec, exec, s[14:15]
	v_mad_u64_u32 v[28:29], s[10:11], v32, s24, 0
	v_mul_lo_u32 v33, v33, s24
	s_waitcnt vmcnt(0)
	v_mul_lo_u32 v44, v32, s25
	s_or_b64 s[10:11], s[8:9], s[58:59]
	v_add3_u32 v29, v29, v44, v33
	s_xor_b64 s[10:11], s[10:11], -1
	s_and_saveexec_b64 s[14:15], s[10:11]
	s_cbranch_execz .LBB13_48
; %bb.46:                               ;   in Loop: Header=BB13_9 Depth=2
	ds_read_u16 v32, v39
	v_lshlrev_b32_e32 v33, 16, v45
	v_cmp_u_f32_e64 s[10:11], v33, v33
	s_waitcnt lgkmcnt(0)
	v_lshlrev_b32_e32 v32, 16, v32
	v_cmp_gt_f32_e32 vcc, v33, v32
	s_or_b64 s[10:11], s[10:11], vcc
	s_and_b64 exec, exec, s[10:11]
	s_cbranch_execz .LBB13_48
; %bb.47:                               ;   in Loop: Header=BB13_9 Depth=2
	v_add_co_u32_e32 v32, vcc, v28, v22
	v_addc_co_u32_e32 v33, vcc, v29, v23, vcc
	ds_write_b16 v39, v45
	ds_write_b64 v40, v[32:33]
.LBB13_48:                              ;   in Loop: Header=BB13_9 Depth=2
	s_or_b64 exec, exec, s[14:15]
	s_or_b64 s[10:11], s[8:9], s[16:17]
	s_xor_b64 s[10:11], s[10:11], -1
	s_and_saveexec_b64 s[14:15], s[10:11]
	s_cbranch_execz .LBB13_51
; %bb.49:                               ;   in Loop: Header=BB13_9 Depth=2
	ds_read_u16 v32, v39
	v_lshlrev_b32_e32 v33, 16, v51
	v_cmp_u_f32_e64 s[10:11], v33, v33
	s_waitcnt lgkmcnt(0)
	v_lshlrev_b32_e32 v32, 16, v32
	v_cmp_gt_f32_e32 vcc, v33, v32
	s_or_b64 s[10:11], s[10:11], vcc
	s_and_b64 exec, exec, s[10:11]
	s_cbranch_execz .LBB13_51
; %bb.50:                               ;   in Loop: Header=BB13_9 Depth=2
	v_add_co_u32_e32 v32, vcc, v28, v24
	v_addc_co_u32_e32 v33, vcc, v29, v25, vcc
	ds_write_b16 v39, v51
	ds_write_b64 v40, v[32:33]
.LBB13_51:                              ;   in Loop: Header=BB13_9 Depth=2
	s_or_b64 exec, exec, s[14:15]
	s_or_b64 s[8:9], s[8:9], s[12:13]
	s_xor_b64 s[8:9], s[8:9], -1
	s_and_saveexec_b64 s[10:11], s[8:9]
	s_cbranch_execz .LBB13_54
; %bb.52:                               ;   in Loop: Header=BB13_9 Depth=2
	ds_read_u16 v32, v39
	v_lshlrev_b32_e32 v33, 16, v46
	v_cmp_u_f32_e64 s[8:9], v33, v33
	s_waitcnt lgkmcnt(0)
	v_lshlrev_b32_e32 v32, 16, v32
	v_cmp_gt_f32_e32 vcc, v33, v32
	s_or_b64 s[8:9], s[8:9], vcc
	s_and_b64 exec, exec, s[8:9]
	s_cbranch_execz .LBB13_54
; %bb.53:                               ;   in Loop: Header=BB13_9 Depth=2
	v_add_co_u32_e32 v28, vcc, v28, v26
	v_addc_co_u32_e32 v29, vcc, v29, v27, vcc
	ds_write_b16 v39, v46
	ds_write_b64 v40, v[28:29]
.LBB13_54:                              ;   in Loop: Header=BB13_9 Depth=2
	s_or_b64 exec, exec, s[10:11]
	v_mad_u64_u32 v[28:29], s[8:9], v30, s24, 0
	v_mul_lo_u32 v31, v31, s24
	v_mul_lo_u32 v32, v30, s25
	s_or_b64 s[8:9], s[6:7], s[58:59]
	v_add3_u32 v29, v29, v32, v31
	s_xor_b64 s[8:9], s[8:9], -1
	s_and_saveexec_b64 s[10:11], s[8:9]
	s_cbranch_execz .LBB13_57
; %bb.55:                               ;   in Loop: Header=BB13_9 Depth=2
	ds_read_u16 v30, v39
	v_lshlrev_b32_e32 v31, 16, v52
	v_cmp_u_f32_e64 s[8:9], v31, v31
	s_waitcnt lgkmcnt(0)
	v_lshlrev_b32_e32 v30, 16, v30
	v_cmp_gt_f32_e32 vcc, v31, v30
	s_or_b64 s[8:9], s[8:9], vcc
	s_and_b64 exec, exec, s[8:9]
	s_cbranch_execz .LBB13_57
; %bb.56:                               ;   in Loop: Header=BB13_9 Depth=2
	v_add_co_u32_e32 v22, vcc, v28, v22
	v_addc_co_u32_e32 v23, vcc, v29, v23, vcc
	ds_write_b16 v39, v52
	ds_write_b64 v40, v[22:23]
.LBB13_57:                              ;   in Loop: Header=BB13_9 Depth=2
	s_or_b64 exec, exec, s[10:11]
	s_or_b64 s[8:9], s[6:7], s[16:17]
	s_xor_b64 s[8:9], s[8:9], -1
	s_and_saveexec_b64 s[10:11], s[8:9]
	s_cbranch_execz .LBB13_60
; %bb.58:                               ;   in Loop: Header=BB13_9 Depth=2
	ds_read_u16 v22, v39
	v_lshlrev_b32_e32 v23, 16, v47
	v_cmp_u_f32_e64 s[8:9], v23, v23
	s_waitcnt lgkmcnt(0)
	v_lshlrev_b32_e32 v22, 16, v22
	v_cmp_gt_f32_e32 vcc, v23, v22
	s_or_b64 s[8:9], s[8:9], vcc
	s_and_b64 exec, exec, s[8:9]
	s_cbranch_execz .LBB13_60
; %bb.59:                               ;   in Loop: Header=BB13_9 Depth=2
	v_add_co_u32_e32 v22, vcc, v28, v24
	v_addc_co_u32_e32 v23, vcc, v29, v25, vcc
	ds_write_b16 v39, v47
	ds_write_b64 v40, v[22:23]
.LBB13_60:                              ;   in Loop: Header=BB13_9 Depth=2
	s_or_b64 exec, exec, s[10:11]
	s_or_b64 s[6:7], s[6:7], s[12:13]
	s_xor_b64 s[6:7], s[6:7], -1
	s_and_saveexec_b64 s[8:9], s[6:7]
	s_cbranch_execz .LBB13_63
; %bb.61:                               ;   in Loop: Header=BB13_9 Depth=2
	ds_read_u16 v22, v39
	v_lshlrev_b32_e32 v23, 16, v48
	v_cmp_u_f32_e64 s[6:7], v23, v23
	s_waitcnt lgkmcnt(0)
	v_lshlrev_b32_e32 v22, 16, v22
	v_cmp_gt_f32_e32 vcc, v23, v22
	s_or_b64 s[6:7], s[6:7], vcc
	s_and_b64 exec, exec, s[6:7]
	s_cbranch_execz .LBB13_63
; %bb.62:                               ;   in Loop: Header=BB13_9 Depth=2
	v_add_co_u32_e32 v22, vcc, v28, v26
	v_addc_co_u32_e32 v23, vcc, v29, v27, vcc
	ds_write_b16 v39, v48
	ds_write_b64 v40, v[22:23]
.LBB13_63:                              ;   in Loop: Header=BB13_9 Depth=2
	s_or_b64 exec, exec, s[8:9]
	s_branch .LBB13_17
.LBB13_64:                              ;   in Loop: Header=BB13_9 Depth=2
	v_cmp_lt_i64_e32 vcc, v[12:13], v[14:15]
	s_and_saveexec_b64 s[10:11], vcc
	s_cbranch_execz .LBB13_75
; %bb.65:                               ;   in Loop: Header=BB13_9 Depth=2
	v_cmp_lt_i64_e32 vcc, v[18:19], v[20:21]
	s_mov_b64 s[12:13], 0
	v_pk_mov_b32 v[22:23], v[12:13], v[12:13] op_sel:[0,1]
	s_branch .LBB13_67
.LBB13_66:                              ;   in Loop: Header=BB13_67 Depth=3
	s_or_b64 exec, exec, s[14:15]
	v_mov_b32_e32 v24, s31
	v_add_co_u32_e64 v22, s[6:7], s30, v22
	v_addc_co_u32_e64 v23, s[6:7], v23, v24, s[6:7]
	v_cmp_ge_i64_e64 s[6:7], v[22:23], v[14:15]
	s_or_b64 s[12:13], s[6:7], s[12:13]
	s_andn2_b64 exec, exec, s[12:13]
	s_cbranch_execz .LBB13_75
.LBB13_67:                              ;   Parent Loop BB13_6 Depth=1
                                        ;     Parent Loop BB13_9 Depth=2
                                        ; =>    This Loop Header: Depth=3
                                        ;         Child Loop BB13_70 Depth 4
                                        ;           Child Loop BB13_73 Depth 5
	s_and_saveexec_b64 s[14:15], vcc
	s_cbranch_execz .LBB13_66
; %bb.68:                               ;   in Loop: Header=BB13_67 Depth=3
	v_mul_lo_u32 v26, v23, s40
	v_mul_lo_u32 v27, v22, s41
	v_mad_u64_u32 v[24:25], s[6:7], v22, s40, 0
	v_add3_u32 v25, v25, v27, v26
	v_lshlrev_b64 v[24:25], 1, v[24:25]
	v_mov_b32_e32 v26, s64
	v_add_co_u32_e64 v44, s[6:7], s63, v24
	v_addc_co_u32_e64 v45, s[6:7], v26, v25, s[6:7]
	v_mul_lo_u32 v26, v23, s24
	v_mul_lo_u32 v27, v22, s25
	v_mad_u64_u32 v[24:25], s[6:7], v22, s24, 0
	v_add3_u32 v25, v25, v27, v26
	s_mov_b64 s[16:17], 0
	v_pk_mov_b32 v[26:27], v[18:19], v[18:19] op_sel:[0,1]
	s_branch .LBB13_70
.LBB13_69:                              ;   in Loop: Header=BB13_70 Depth=4
	s_or_b64 exec, exec, s[58:59]
	v_mov_b32_e32 v28, s73
	v_add_co_u32_e64 v26, s[6:7], s74, v26
	v_addc_co_u32_e64 v27, s[6:7], v27, v28, s[6:7]
	v_cmp_ge_i64_e64 s[6:7], v[26:27], v[20:21]
	s_or_b64 s[16:17], s[6:7], s[16:17]
	s_andn2_b64 exec, exec, s[16:17]
	s_cbranch_execz .LBB13_66
.LBB13_70:                              ;   Parent Loop BB13_6 Depth=1
                                        ;     Parent Loop BB13_9 Depth=2
                                        ;       Parent Loop BB13_67 Depth=3
                                        ; =>      This Loop Header: Depth=4
                                        ;           Child Loop BB13_73 Depth 5
	s_and_saveexec_b64 s[58:59], s[4:5]
	s_cbranch_execz .LBB13_69
; %bb.71:                               ;   in Loop: Header=BB13_70 Depth=4
	v_mul_lo_u32 v30, v27, s42
	v_mul_lo_u32 v31, v26, s43
	v_mad_u64_u32 v[28:29], s[6:7], v26, s42, 0
	v_add3_u32 v29, v29, v31, v30
	v_lshlrev_b64 v[28:29], 1, v[28:29]
	v_add_co_u32_e64 v46, s[6:7], v44, v28
	v_addc_co_u32_e64 v47, s[6:7], v45, v29, s[6:7]
	v_add_co_u32_e64 v28, s[6:7], v26, v24
	v_addc_co_u32_e64 v29, s[6:7], v27, v25, s[6:7]
	s_mov_b64 s[60:61], 0
	v_mov_b32_e32 v48, v42
	v_mov_b32_e32 v49, v41
	v_pk_mov_b32 v[30:31], v[2:3], v[2:3] op_sel:[0,1]
	v_pk_mov_b32 v[32:33], v[0:1], v[0:1] op_sel:[0,1]
	s_branch .LBB13_73
.LBB13_72:                              ;   in Loop: Header=BB13_73 Depth=5
	s_or_b64 exec, exec, s[6:7]
	v_mov_b32_e32 v50, s19
	v_add_co_u32_e64 v32, s[6:7], s18, v32
	v_addc_co_u32_e64 v33, s[6:7], v33, v50, s[6:7]
	v_mov_b32_e32 v50, s77
	v_add_co_u32_e64 v30, s[6:7], s78, v30
	v_addc_co_u32_e64 v31, s[6:7], v31, v50, s[6:7]
	v_cmp_le_i64_e64 s[6:7], s[20:21], v[32:33]
	v_add_u32_e32 v49, s79, v49
	s_or_b64 s[60:61], s[6:7], s[60:61]
	v_add_u32_e32 v48, s80, v48
	s_andn2_b64 exec, exec, s[60:61]
	s_cbranch_execz .LBB13_69
.LBB13_73:                              ;   Parent Loop BB13_6 Depth=1
                                        ;     Parent Loop BB13_9 Depth=2
                                        ;       Parent Loop BB13_67 Depth=3
                                        ;         Parent Loop BB13_70 Depth=4
                                        ; =>        This Inner Loop Header: Depth=5
	v_lshlrev_b64 v[50:51], 1, v[30:31]
	v_add_co_u32_e64 v50, s[6:7], v46, v50
	v_addc_co_u32_e64 v51, s[6:7], v47, v51, s[6:7]
	global_load_ushort v50, v[50:51], off
	ds_read_u16 v51, v49
	s_waitcnt lgkmcnt(0)
	v_lshlrev_b32_e32 v51, 16, v51
	s_waitcnt vmcnt(0)
	v_lshlrev_b32_e32 v52, 16, v50
	v_cmp_gt_f32_e64 s[6:7], v52, v51
	v_cmp_u_f32_e64 s[8:9], v52, v52
	s_or_b64 s[8:9], s[8:9], s[6:7]
	s_and_saveexec_b64 s[6:7], s[8:9]
	s_cbranch_execz .LBB13_72
; %bb.74:                               ;   in Loop: Header=BB13_73 Depth=5
	ds_write_b16 v49, v50
	ds_write_b64 v48, v[28:29]
	s_branch .LBB13_72
.LBB13_75:                              ;   in Loop: Header=BB13_9 Depth=2
	s_or_b64 exec, exec, s[10:11]
	s_and_saveexec_b64 s[6:7], s[4:5]
	s_cbranch_execz .LBB13_8
.LBB13_76:                              ;   in Loop: Header=BB13_9 Depth=2
	v_add_co_u32_e32 v20, vcc, v10, v16
	v_addc_co_u32_e32 v21, vcc, v11, v9, vcc
	v_lshlrev_b64 v[18:19], 3, v[20:21]
	v_mov_b32_e32 v9, s27
	v_add_co_u32_e32 v18, vcc, s26, v18
	v_addc_co_u32_e32 v9, vcc, v9, v19, vcc
	v_mul_lo_u32 v9, s20, v9
	v_mul_lo_u32 v22, s21, v18
	v_mad_u64_u32 v[18:19], s[8:9], s20, v18, v[4:5]
	v_lshlrev_b64 v[20:21], 1, v[20:21]
	v_add3_u32 v19, v22, v19, v9
	v_mov_b32_e32 v9, s49
	v_add_co_u32_e32 v20, vcc, s48, v20
	v_addc_co_u32_e32 v9, vcc, v9, v21, vcc
	v_mul_lo_u32 v9, s20, v9
	v_mul_lo_u32 v22, s21, v20
	v_mad_u64_u32 v[20:21], s[8:9], s20, v20, v[6:7]
	v_add3_u32 v21, v22, v21, v9
	s_mov_b64 s[8:9], 0
	v_mov_b32_e32 v24, v42
	v_mov_b32_e32 v25, v41
	v_pk_mov_b32 v[22:23], v[0:1], v[0:1] op_sel:[0,1]
.LBB13_77:                              ;   Parent Loop BB13_6 Depth=1
                                        ;     Parent Loop BB13_9 Depth=2
                                        ; =>    This Inner Loop Header: Depth=3
	ds_read_u16 v28, v25
	ds_read_b64 v[26:27], v24
	v_mov_b32_e32 v29, s19
	v_add_co_u32_e32 v22, vcc, s18, v22
	v_addc_co_u32_e32 v23, vcc, v23, v29, vcc
	v_mov_b32_e32 v9, v8
	v_cmp_le_i64_e32 vcc, s[20:21], v[22:23]
	ds_write_b16 v25, v43
	v_mov_b32_e32 v30, s39
	ds_write_b64 v24, v[8:9]
	s_or_b64 s[8:9], vcc, s[8:9]
	s_waitcnt lgkmcnt(3)
	global_store_short v[20:21], v28, off
	s_waitcnt lgkmcnt(2)
	global_store_dwordx2 v[18:19], v[26:27], off
	v_add_co_u32_e32 v18, vcc, s38, v18
	v_addc_co_u32_e32 v19, vcc, v19, v30, vcc
	v_mov_b32_e32 v31, s53
	v_add_co_u32_e32 v20, vcc, s52, v20
	v_add_u32_e32 v25, s79, v25
	v_add_u32_e32 v24, s80, v24
	v_addc_co_u32_e32 v21, vcc, v21, v31, vcc
	s_andn2_b64 exec, exec, s[8:9]
	s_cbranch_execnz .LBB13_77
	s_branch .LBB13_8
.LBB13_78:
	s_endpgm
	.section	.rodata,"a",@progbits
	.p2align	6, 0x0
	.amdhsa_kernel _ZN2at6native12_GLOBAL__N_121max_pool_forward_nhwcIN3c108BFloat16ElEEvPKT_iT0_S8_S8_S8_S8_iiiiiiiiS8_S8_S8_S8_iiPS5_Pl
		.amdhsa_group_segment_fixed_size 0
		.amdhsa_private_segment_fixed_size 0
		.amdhsa_kernarg_size 400
		.amdhsa_user_sgpr_count 6
		.amdhsa_user_sgpr_private_segment_buffer 1
		.amdhsa_user_sgpr_dispatch_ptr 0
		.amdhsa_user_sgpr_queue_ptr 0
		.amdhsa_user_sgpr_kernarg_segment_ptr 1
		.amdhsa_user_sgpr_dispatch_id 0
		.amdhsa_user_sgpr_flat_scratch_init 0
		.amdhsa_user_sgpr_kernarg_preload_length 0
		.amdhsa_user_sgpr_kernarg_preload_offset 0
		.amdhsa_user_sgpr_private_segment_size 0
		.amdhsa_uses_dynamic_stack 0
		.amdhsa_system_sgpr_private_segment_wavefront_offset 0
		.amdhsa_system_sgpr_workgroup_id_x 1
		.amdhsa_system_sgpr_workgroup_id_y 1
		.amdhsa_system_sgpr_workgroup_id_z 1
		.amdhsa_system_sgpr_workgroup_info 0
		.amdhsa_system_vgpr_workitem_id 2
		.amdhsa_next_free_vgpr 62
		.amdhsa_next_free_sgpr 81
		.amdhsa_accum_offset 64
		.amdhsa_reserve_vcc 1
		.amdhsa_reserve_flat_scratch 0
		.amdhsa_float_round_mode_32 0
		.amdhsa_float_round_mode_16_64 0
		.amdhsa_float_denorm_mode_32 3
		.amdhsa_float_denorm_mode_16_64 3
		.amdhsa_dx10_clamp 1
		.amdhsa_ieee_mode 1
		.amdhsa_fp16_overflow 0
		.amdhsa_tg_split 0
		.amdhsa_exception_fp_ieee_invalid_op 0
		.amdhsa_exception_fp_denorm_src 0
		.amdhsa_exception_fp_ieee_div_zero 0
		.amdhsa_exception_fp_ieee_overflow 0
		.amdhsa_exception_fp_ieee_underflow 0
		.amdhsa_exception_fp_ieee_inexact 0
		.amdhsa_exception_int_div_zero 0
	.end_amdhsa_kernel
	.section	.text._ZN2at6native12_GLOBAL__N_121max_pool_forward_nhwcIN3c108BFloat16ElEEvPKT_iT0_S8_S8_S8_S8_iiiiiiiiS8_S8_S8_S8_iiPS5_Pl,"axG",@progbits,_ZN2at6native12_GLOBAL__N_121max_pool_forward_nhwcIN3c108BFloat16ElEEvPKT_iT0_S8_S8_S8_S8_iiiiiiiiS8_S8_S8_S8_iiPS5_Pl,comdat
.Lfunc_end13:
	.size	_ZN2at6native12_GLOBAL__N_121max_pool_forward_nhwcIN3c108BFloat16ElEEvPKT_iT0_S8_S8_S8_S8_iiiiiiiiS8_S8_S8_S8_iiPS5_Pl, .Lfunc_end13-_ZN2at6native12_GLOBAL__N_121max_pool_forward_nhwcIN3c108BFloat16ElEEvPKT_iT0_S8_S8_S8_S8_iiiiiiiiS8_S8_S8_S8_iiPS5_Pl
                                        ; -- End function
	.section	.AMDGPU.csdata,"",@progbits
; Kernel info:
; codeLenInByte = 5012
; NumSgprs: 85
; NumVgprs: 62
; NumAgprs: 0
; TotalNumVgprs: 62
; ScratchSize: 0
; MemoryBound: 0
; FloatMode: 240
; IeeeMode: 1
; LDSByteSize: 0 bytes/workgroup (compile time only)
; SGPRBlocks: 10
; VGPRBlocks: 7
; NumSGPRsForWavesPerEU: 85
; NumVGPRsForWavesPerEU: 62
; AccumOffset: 64
; Occupancy: 8
; WaveLimiterHint : 1
; COMPUTE_PGM_RSRC2:SCRATCH_EN: 0
; COMPUTE_PGM_RSRC2:USER_SGPR: 6
; COMPUTE_PGM_RSRC2:TRAP_HANDLER: 0
; COMPUTE_PGM_RSRC2:TGID_X_EN: 1
; COMPUTE_PGM_RSRC2:TGID_Y_EN: 1
; COMPUTE_PGM_RSRC2:TGID_Z_EN: 1
; COMPUTE_PGM_RSRC2:TIDIG_COMP_CNT: 2
; COMPUTE_PGM_RSRC3_GFX90A:ACCUM_OFFSET: 15
; COMPUTE_PGM_RSRC3_GFX90A:TG_SPLIT: 0
	.section	.text._ZN2at6native12_GLOBAL__N_121max_pool_forward_nchwIN3c108BFloat16EiEEvT0_PKT_llliiiiiiiiiiPS6_Pl,"axG",@progbits,_ZN2at6native12_GLOBAL__N_121max_pool_forward_nchwIN3c108BFloat16EiEEvT0_PKT_llliiiiiiiiiiPS6_Pl,comdat
	.globl	_ZN2at6native12_GLOBAL__N_121max_pool_forward_nchwIN3c108BFloat16EiEEvT0_PKT_llliiiiiiiiiiPS6_Pl ; -- Begin function _ZN2at6native12_GLOBAL__N_121max_pool_forward_nchwIN3c108BFloat16EiEEvT0_PKT_llliiiiiiiiiiPS6_Pl
	.p2align	8
	.type	_ZN2at6native12_GLOBAL__N_121max_pool_forward_nchwIN3c108BFloat16EiEEvT0_PKT_llliiiiiiiiiiPS6_Pl,@function
_ZN2at6native12_GLOBAL__N_121max_pool_forward_nchwIN3c108BFloat16EiEEvT0_PKT_llliiiiiiiiiiPS6_Pl: ; @_ZN2at6native12_GLOBAL__N_121max_pool_forward_nchwIN3c108BFloat16EiEEvT0_PKT_llliiiiiiiiiiPS6_Pl
; %bb.0:
	s_load_dword s28, s[4:5], 0x0
	s_load_dword s2, s[4:5], 0x6c
	v_mov_b32_e32 v2, 0
	v_mov_b32_e32 v1, v2
	;; [unrolled: 1-line block ×3, first 2 shown]
	s_waitcnt lgkmcnt(0)
	s_ashr_i32 s29, s28, 31
	s_add_u32 s0, s4, 0x60
	s_addc_u32 s1, s5, 0
	s_and_b32 s2, s2, 0xffff
	v_mad_u64_u32 v[0:1], s[6:7], s2, v3, v[0:1]
	v_cmp_gt_i64_e32 vcc, s[28:29], v[0:1]
	s_and_saveexec_b64 s[6:7], vcc
	s_cbranch_execz .LBB14_15
; %bb.1:
	s_load_dwordx8 s[8:15], s[4:5], 0x28
	s_load_dwordx2 s[6:7], s[4:5], 0x48
	s_load_dwordx8 s[16:23], s[4:5], 0x8
	s_load_dwordx4 s[24:27], s[4:5], 0x50
	s_load_dword s3, s[0:1], 0x0
	s_waitcnt lgkmcnt(0)
	s_abs_i32 s48, s9
	v_cvt_f32_u32_e32 v3, s48
	s_abs_i32 s54, s8
	v_cvt_f32_u32_e32 v4, s54
	s_add_i32 s0, s10, -1
	v_rcp_iflag_f32_e32 v3, v3
	s_mul_i32 s33, s0, s6
	s_add_i32 s0, s11, -1
	v_rcp_iflag_f32_e32 v4, v4
	v_mul_f32_e32 v3, 0x4f7ffffe, v3
	v_cvt_u32_f32_e32 v3, v3
	s_mul_i32 s49, s0, s7
	s_sub_i32 s0, 0, s48
	s_max_u32 s52, s6, 1
	v_mul_lo_u32 v5, s0, v3
	v_mul_hi_u32 v5, v3, v5
	v_add_u32_e32 v9, v3, v5
	v_mul_f32_e32 v3, 0x4f7ffffe, v4
	v_cvt_f32_u32_e32 v4, s52
	s_max_u32 s53, s7, 1
	v_cvt_f32_u32_e32 v6, s53
	v_cvt_u32_f32_e32 v3, v3
	v_rcp_iflag_f32_e32 v4, v4
	s_sub_i32 s0, 0, s54
	v_rcp_iflag_f32_e32 v6, v6
	v_mul_lo_u32 v5, s0, v3
	v_mul_f32_e32 v4, 0x4f7ffffe, v4
	v_mul_hi_u32 v5, v3, v5
	v_cvt_u32_f32_e32 v4, v4
	v_add_u32_e32 v12, v3, v5
	v_mul_f32_e32 v5, 0x4f7ffffe, v6
	v_cvt_u32_f32_e32 v5, v5
	s_sub_i32 s0, 0, s52
	v_mul_lo_u32 v3, s0, v4
	v_mul_hi_u32 v3, v4, v3
	s_sub_i32 s0, 0, s53
	v_add_u32_e32 v13, v4, v3
	v_mul_lo_u32 v3, s0, v5
	s_mul_i32 s0, s22, s21
	s_mul_hi_u32 s1, s22, s20
	s_add_i32 s0, s1, s0
	s_mul_i32 s1, s23, s20
	s_add_i32 s1, s0, s1
	s_mul_i32 s0, s22, s20
	s_lshl_b64 s[10:11], s[0:1], 1
	s_ashr_i32 s0, s6, 31
	s_mul_hi_u32 s1, s22, s6
	s_mul_i32 s0, s22, s0
	s_add_i32 s0, s1, s0
	s_mul_i32 s1, s23, s6
	v_mul_hi_u32 v3, v5, v3
	s_add_i32 s31, s0, s1
	s_mul_i32 s30, s6, s22
	s_ashr_i32 s1, s7, 31
	s_mov_b32 s0, s7
	s_add_i32 s33, s33, 1
	s_add_i32 s49, s49, 1
	s_mul_i32 s50, s3, s2
	s_mov_b32 s51, 0
	s_ashr_i32 s55, s9, 31
	s_ashr_i32 s56, s8, 31
	v_add_u32_e32 v14, v5, v3
	s_sub_i32 s21, 0, s14
	s_sub_i32 s57, 0, s15
	s_lshl_b64 s[34:35], s[30:31], 1
	s_lshl_b64 s[36:37], s[0:1], 1
	s_mov_b64 s[38:39], 0
	s_branch .LBB14_4
.LBB14_2:                               ;   in Loop: Header=BB14_4 Depth=1
	s_or_b64 exec, exec, s[42:43]
.LBB14_3:                               ;   in Loop: Header=BB14_4 Depth=1
	s_or_b64 exec, exec, s[40:41]
	v_ashrrev_i32_e32 v5, 31, v0
	v_mov_b32_e32 v4, v0
	v_lshlrev_b64 v[10:11], 1, v[4:5]
	v_mov_b32_e32 v3, s25
	v_add_co_u32_e32 v10, vcc, s24, v10
	v_addc_co_u32_e32 v11, vcc, v3, v11, vcc
	v_lshlrev_b64 v[4:5], 3, v[4:5]
	v_mov_b32_e32 v3, s27
	v_add_co_u32_e32 v4, vcc, s26, v4
	v_addc_co_u32_e32 v5, vcc, v3, v5, vcc
	v_mov_b32_e32 v3, s51
	v_add_co_u32_e32 v0, vcc, s50, v0
	v_addc_co_u32_e32 v1, vcc, v1, v3, vcc
	v_cmp_le_i64_e32 vcc, s[28:29], v[0:1]
	v_ashrrev_i32_e32 v7, 31, v6
	s_or_b64 s[38:39], vcc, s[38:39]
	global_store_short v[10:11], v16, off
	global_store_dwordx2 v[4:5], v[6:7], off
	s_andn2_b64 exec, exec, s[38:39]
	s_cbranch_execz .LBB14_15
.LBB14_4:                               ; =>This Loop Header: Depth=1
                                        ;     Child Loop BB14_11 Depth 2
                                        ;       Child Loop BB14_13 Depth 3
	v_sub_u32_e32 v4, 0, v0
	v_max_i32_e32 v4, v0, v4
	v_mul_hi_u32 v5, v4, v9
	v_mul_lo_u32 v6, v5, s48
	v_sub_u32_e32 v4, v4, v6
	v_add_u32_e32 v6, 1, v5
	v_cmp_le_u32_e32 vcc, s48, v4
	v_cndmask_b32_e32 v5, v5, v6, vcc
	v_subrev_u32_e32 v6, s48, v4
	v_cndmask_b32_e32 v4, v4, v6, vcc
	v_ashrrev_i32_e32 v3, 31, v0
	v_add_u32_e32 v6, 1, v5
	v_cmp_le_u32_e32 vcc, s48, v4
	v_xor_b32_e32 v3, s55, v3
	v_cndmask_b32_e32 v4, v5, v6, vcc
	v_xor_b32_e32 v4, v4, v3
	v_sub_u32_e32 v6, v4, v3
	v_sub_u32_e32 v4, 0, v6
	v_max_i32_e32 v4, v6, v4
	v_mul_hi_u32 v5, v4, v12
	v_mul_lo_u32 v7, v5, s54
	v_sub_u32_e32 v4, v4, v7
	v_add_u32_e32 v7, 1, v5
	v_cmp_le_u32_e32 vcc, s54, v4
	v_cndmask_b32_e32 v5, v5, v7, vcc
	v_subrev_u32_e32 v7, s54, v4
	v_cndmask_b32_e32 v4, v4, v7, vcc
	v_ashrrev_i32_e32 v3, 31, v6
	v_add_u32_e32 v7, 1, v5
	v_cmp_le_u32_e32 vcc, s54, v4
	v_xor_b32_e32 v3, s56, v3
	v_cndmask_b32_e32 v4, v5, v7, vcc
	v_xor_b32_e32 v4, v4, v3
	v_sub_u32_e32 v4, v4, v3
	v_ashrrev_i32_e32 v5, 31, v4
	v_or_b32_e32 v3, s19, v5
	v_cmp_ne_u64_e32 vcc, 0, v[2:3]
                                        ; implicit-def: $vgpr10_vgpr11
	s_and_saveexec_b64 s[0:1], vcc
	s_xor_b64 s[2:3], exec, s[0:1]
	s_cbranch_execz .LBB14_6
; %bb.5:                                ;   in Loop: Header=BB14_4 Depth=1
	s_ashr_i32 s4, s19, 31
	s_add_u32 s0, s18, s4
	s_mov_b32 s5, s4
	s_addc_u32 s1, s19, s4
	s_xor_b64 s[40:41], s[0:1], s[4:5]
	v_cvt_f32_u32_e32 v3, s40
	v_cvt_f32_u32_e32 v7, s41
	s_sub_u32 s0, 0, s40
	s_subb_u32 s1, 0, s41
	v_mac_f32_e32 v3, 0x4f800000, v7
	v_rcp_f32_e32 v3, v3
	v_mul_f32_e32 v3, 0x5f7ffffc, v3
	v_mul_f32_e32 v7, 0x2f800000, v3
	v_trunc_f32_e32 v7, v7
	v_mac_f32_e32 v3, 0xcf800000, v7
	v_cvt_u32_f32_e32 v7, v7
	v_cvt_u32_f32_e32 v3, v3
	v_mul_lo_u32 v8, s0, v7
	v_mul_hi_u32 v11, s0, v3
	v_mul_lo_u32 v10, s1, v3
	v_add_u32_e32 v8, v11, v8
	v_mul_lo_u32 v15, s0, v3
	v_add_u32_e32 v8, v8, v10
	v_mul_lo_u32 v11, v3, v8
	v_mul_hi_u32 v16, v3, v15
	v_mul_hi_u32 v10, v3, v8
	v_add_co_u32_e32 v11, vcc, v16, v11
	v_addc_co_u32_e32 v10, vcc, 0, v10, vcc
	v_mul_hi_u32 v17, v7, v15
	v_mul_lo_u32 v15, v7, v15
	v_add_co_u32_e32 v11, vcc, v11, v15
	v_mul_hi_u32 v16, v7, v8
	v_addc_co_u32_e32 v10, vcc, v10, v17, vcc
	v_addc_co_u32_e32 v11, vcc, 0, v16, vcc
	v_mul_lo_u32 v8, v7, v8
	v_add_co_u32_e32 v8, vcc, v10, v8
	v_addc_co_u32_e32 v10, vcc, 0, v11, vcc
	v_add_co_u32_e32 v3, vcc, v3, v8
	v_addc_co_u32_e32 v7, vcc, v7, v10, vcc
	v_mul_lo_u32 v8, s0, v7
	v_mul_hi_u32 v10, s0, v3
	v_add_u32_e32 v8, v10, v8
	v_mul_lo_u32 v10, s1, v3
	v_add_u32_e32 v8, v8, v10
	v_mul_lo_u32 v11, s0, v3
	v_mul_hi_u32 v15, v7, v11
	v_mul_lo_u32 v16, v7, v11
	v_mul_lo_u32 v18, v3, v8
	v_mul_hi_u32 v11, v3, v11
	v_mul_hi_u32 v17, v3, v8
	v_add_co_u32_e32 v11, vcc, v11, v18
	v_addc_co_u32_e32 v17, vcc, 0, v17, vcc
	v_add_co_u32_e32 v11, vcc, v11, v16
	v_mul_hi_u32 v10, v7, v8
	v_addc_co_u32_e32 v11, vcc, v17, v15, vcc
	v_addc_co_u32_e32 v10, vcc, 0, v10, vcc
	v_mul_lo_u32 v8, v7, v8
	v_add_co_u32_e32 v8, vcc, v11, v8
	v_addc_co_u32_e32 v10, vcc, 0, v10, vcc
	v_add_co_u32_e32 v15, vcc, v3, v8
	v_addc_co_u32_e32 v7, vcc, v7, v10, vcc
	v_mov_b32_e32 v8, v5
	v_mov_b32_e32 v3, v5
	v_add_co_u32_e32 v10, vcc, v4, v8
	v_addc_co_u32_e32 v11, vcc, v5, v3, vcc
	v_xor_b32_e32 v19, v10, v8
	v_xor_b32_e32 v18, v11, v3
	v_mad_u64_u32 v[10:11], s[0:1], v19, v7, 0
	v_mul_hi_u32 v16, v19, v15
	v_add_co_u32_e32 v20, vcc, v16, v10
	v_addc_co_u32_e32 v21, vcc, 0, v11, vcc
	v_mad_u64_u32 v[16:17], s[0:1], v18, v15, 0
	v_mad_u64_u32 v[10:11], s[0:1], v18, v7, 0
	v_add_co_u32_e32 v7, vcc, v20, v16
	v_addc_co_u32_e32 v7, vcc, v21, v17, vcc
	v_addc_co_u32_e32 v11, vcc, 0, v11, vcc
	v_add_co_u32_e32 v7, vcc, v7, v10
	v_addc_co_u32_e32 v15, vcc, 0, v11, vcc
	v_mul_lo_u32 v16, s41, v7
	v_mul_lo_u32 v17, s40, v15
	v_mad_u64_u32 v[10:11], s[0:1], s40, v7, 0
	v_add3_u32 v11, v11, v17, v16
	v_sub_u32_e32 v16, v18, v11
	v_mov_b32_e32 v17, s41
	v_sub_co_u32_e32 v10, vcc, v19, v10
	v_subb_co_u32_e64 v16, s[0:1], v16, v17, vcc
	v_subrev_co_u32_e64 v17, s[0:1], s40, v10
	v_subbrev_co_u32_e64 v16, s[0:1], 0, v16, s[0:1]
	v_cmp_le_u32_e64 s[0:1], s41, v16
	v_cndmask_b32_e64 v19, 0, -1, s[0:1]
	v_cmp_le_u32_e64 s[0:1], s40, v17
	v_cndmask_b32_e64 v17, 0, -1, s[0:1]
	v_cmp_eq_u32_e64 s[0:1], s41, v16
	v_cndmask_b32_e64 v16, v19, v17, s[0:1]
	v_add_co_u32_e64 v17, s[0:1], 2, v7
	v_subb_co_u32_e32 v11, vcc, v18, v11, vcc
	v_addc_co_u32_e64 v19, s[0:1], 0, v15, s[0:1]
	v_cmp_le_u32_e32 vcc, s41, v11
	v_add_co_u32_e64 v20, s[0:1], 1, v7
	v_cndmask_b32_e64 v18, 0, -1, vcc
	v_cmp_le_u32_e32 vcc, s40, v10
	v_addc_co_u32_e64 v21, s[0:1], 0, v15, s[0:1]
	v_cndmask_b32_e64 v10, 0, -1, vcc
	v_cmp_eq_u32_e32 vcc, s41, v11
	v_cmp_ne_u32_e64 s[0:1], 0, v16
	v_cndmask_b32_e32 v10, v18, v10, vcc
	v_cmp_ne_u32_e32 vcc, 0, v10
	v_cndmask_b32_e64 v11, v20, v17, s[0:1]
	v_cndmask_b32_e64 v16, v21, v19, s[0:1]
	v_cndmask_b32_e32 v7, v7, v11, vcc
	v_xor_b32_e32 v8, s4, v8
	v_cndmask_b32_e32 v10, v15, v16, vcc
	v_xor_b32_e32 v3, s4, v3
	v_xor_b32_e32 v7, v7, v8
	;; [unrolled: 1-line block ×3, first 2 shown]
	v_sub_co_u32_e32 v10, vcc, v7, v8
	v_subb_co_u32_e32 v11, vcc, v11, v3, vcc
.LBB14_6:                               ;   in Loop: Header=BB14_4 Depth=1
	s_andn2_saveexec_b64 s[0:1], s[2:3]
	s_cbranch_execz .LBB14_8
; %bb.7:                                ;   in Loop: Header=BB14_4 Depth=1
	v_cvt_f32_u32_e32 v3, s18
	s_sub_i32 s2, 0, s18
	v_mov_b32_e32 v11, v2
	v_rcp_iflag_f32_e32 v3, v3
	v_mul_f32_e32 v3, 0x4f7ffffe, v3
	v_cvt_u32_f32_e32 v3, v3
	v_mul_lo_u32 v7, s2, v3
	v_mul_hi_u32 v7, v3, v7
	v_add_u32_e32 v3, v3, v7
	v_mul_hi_u32 v3, v4, v3
	v_mul_lo_u32 v7, v3, s18
	v_sub_u32_e32 v7, v4, v7
	v_add_u32_e32 v8, 1, v3
	v_subrev_u32_e32 v10, s18, v7
	v_cmp_le_u32_e32 vcc, s18, v7
	v_cndmask_b32_e32 v7, v7, v10, vcc
	v_cndmask_b32_e32 v3, v3, v8, vcc
	v_add_u32_e32 v8, 1, v3
	v_cmp_le_u32_e32 vcc, s18, v7
	v_cndmask_b32_e32 v10, v3, v8, vcc
.LBB14_8:                               ;   in Loop: Header=BB14_4 Depth=1
	s_or_b64 exec, exec, s[0:1]
	v_mul_lo_u32 v7, v4, s8
	v_mul_lo_u32 v3, v6, s9
	v_sub_u32_e32 v6, v6, v7
	v_mul_lo_u32 v17, v6, s12
	v_sub_u32_e32 v3, v0, v3
	v_subrev_u32_e32 v6, s14, v17
	v_mul_lo_u32 v18, v3, s13
	v_max_i32_e32 v3, 0, v6
	v_add_u32_e32 v3, s14, v3
	v_cmp_ne_u32_e32 vcc, v3, v17
	v_cndmask_b32_e64 v8, 0, 1, vcc
	v_add_u32_e32 v8, v17, v8
	v_sub_u32_e32 v3, v3, v8
	v_mul_hi_u32 v8, v3, v13
	v_mul_lo_u32 v15, v8, s52
	v_sub_u32_e32 v3, v3, v15
	v_add_u32_e32 v15, 1, v8
	v_cmp_le_u32_e64 s[0:1], s52, v3
	v_cndmask_b32_e64 v8, v8, v15, s[0:1]
	v_subrev_u32_e32 v15, s52, v3
	v_cndmask_b32_e64 v3, v3, v15, s[0:1]
	v_add_u32_e32 v15, 1, v8
	v_cmp_le_u32_e64 s[0:1], s52, v3
	v_cndmask_b32_e64 v3, v8, v15, s[0:1]
	v_addc_co_u32_e32 v3, vcc, 0, v3, vcc
	v_subrev_u32_e32 v19, s15, v18
	v_mul_lo_u32 v20, v3, s6
	v_add_u32_e32 v7, s33, v6
	v_add_u32_e32 v3, v6, v20
	v_max_i32_e32 v6, 0, v19
	v_add_u32_e32 v6, s15, v6
	v_cmp_ne_u32_e32 vcc, v6, v18
	v_cndmask_b32_e64 v8, 0, 1, vcc
	v_add_u32_e32 v8, v18, v8
	v_sub_u32_e32 v6, v6, v8
	v_mul_hi_u32 v8, v6, v14
	v_mul_lo_u32 v15, v8, s53
	v_sub_u32_e32 v6, v6, v15
	v_add_u32_e32 v15, 1, v8
	v_cmp_le_u32_e64 s[0:1], s53, v6
	v_cndmask_b32_e64 v8, v8, v15, s[0:1]
	v_subrev_u32_e32 v15, s53, v6
	v_cndmask_b32_e64 v6, v6, v15, s[0:1]
	v_add_u32_e32 v15, 1, v8
	v_cmp_le_u32_e64 s[0:1], s53, v6
	v_cndmask_b32_e64 v6, v8, v15, s[0:1]
	v_addc_co_u32_e32 v6, vcc, 0, v6, vcc
	v_mul_lo_u32 v21, v6, s7
	v_min_i32_e32 v15, s20, v7
	v_add_u32_e32 v8, v19, v21
	v_mad_u64_u32 v[6:7], s[0:1], v3, s22, v[8:9]
	v_cmp_lt_i32_e32 vcc, v3, v15
	v_mov_b32_e32 v16, 0xffffff80
	s_and_saveexec_b64 s[40:41], vcc
	s_cbranch_execz .LBB14_3
; %bb.9:                                ;   in Loop: Header=BB14_4 Depth=1
	v_mul_lo_u32 v7, v11, s18
	v_mul_lo_u32 v11, v10, s19
	v_mad_u64_u32 v[22:23], s[0:1], v10, s18, 0
	v_add3_u32 v7, v23, v11, v7
	v_sub_co_u32_e32 v4, vcc, v4, v22
	v_subb_co_u32_e32 v5, vcc, v5, v7, vcc
	v_ashrrev_i32_e32 v16, 31, v10
	v_mad_u64_u32 v[4:5], s[0:1], v10, s18, v[4:5]
	v_mul_lo_u32 v10, v16, s18
	v_add3_u32 v5, v10, v5, v11
	v_add3_u32 v16, s21, v17, v20
	;; [unrolled: 1-line block ×3, first 2 shown]
	v_ashrrev_i32_e32 v17, 31, v16
	v_ashrrev_i32_e32 v11, 31, v10
	v_mul_lo_u32 v17, s22, v17
	v_mad_u64_u32 v[10:11], s[0:1], s22, v16, v[10:11]
	v_mul_lo_u32 v18, s23, v16
	v_add3_u32 v11, v18, v11, v17
	v_lshlrev_b64 v[10:11], 1, v[10:11]
	v_add_u32_e32 v7, s49, v19
	v_mad_u64_u32 v[10:11], s[0:1], s10, v4, v[10:11]
	v_mul_lo_u32 v4, s11, v4
	v_mul_lo_u32 v5, s10, v5
	v_min_i32_e32 v7, s22, v7
	v_add3_u32 v5, v4, v11, v5
	v_mov_b32_e32 v11, s17
	v_add_co_u32_e64 v4, s[0:1], s16, v10
	v_cmp_lt_i32_e32 vcc, v8, v7
	v_addc_co_u32_e64 v5, s[0:1], v11, v5, s[0:1]
	v_mul_lo_u32 v17, s22, v16
	s_mov_b64 s[42:43], 0
	v_mov_b32_e32 v16, 0xffffff80
	s_branch .LBB14_11
.LBB14_10:                              ;   in Loop: Header=BB14_11 Depth=2
	s_or_b64 exec, exec, s[44:45]
	v_mov_b32_e32 v10, s35
	v_add_co_u32_e64 v4, s[0:1], s34, v4
	v_add_u32_e32 v3, s6, v3
	v_addc_co_u32_e64 v5, s[0:1], v5, v10, s[0:1]
	v_cmp_ge_i32_e64 s[0:1], v3, v15
	s_or_b64 s[42:43], s[0:1], s[42:43]
	v_add_u32_e32 v17, s30, v17
	s_andn2_b64 exec, exec, s[42:43]
	s_cbranch_execz .LBB14_2
.LBB14_11:                              ;   Parent Loop BB14_4 Depth=1
                                        ; =>  This Loop Header: Depth=2
                                        ;       Child Loop BB14_13 Depth 3
	s_and_saveexec_b64 s[44:45], vcc
	s_cbranch_execz .LBB14_10
; %bb.12:                               ;   in Loop: Header=BB14_11 Depth=2
	s_mov_b64 s[46:47], 0
	v_pk_mov_b32 v[10:11], v[4:5], v[4:5] op_sel:[0,1]
	v_mov_b32_e32 v18, v8
.LBB14_13:                              ;   Parent Loop BB14_4 Depth=1
                                        ;     Parent Loop BB14_11 Depth=2
                                        ; =>    This Inner Loop Header: Depth=3
	global_load_ushort v19, v[10:11], off
	v_mov_b32_e32 v22, s37
	v_add_co_u32_e64 v10, s[0:1], s36, v10
	v_lshlrev_b32_e32 v20, 16, v16
	v_addc_co_u32_e64 v11, s[0:1], v11, v22, s[0:1]
	v_add_u32_e32 v21, v17, v18
	v_add_u32_e32 v18, s7, v18
	v_cmp_ge_i32_e64 s[0:1], v18, v7
	s_waitcnt vmcnt(0)
	v_lshlrev_b32_e32 v22, 16, v19
	v_cmp_gt_f32_e64 s[2:3], v22, v20
	v_cmp_u_f32_e64 s[4:5], v22, v22
	s_or_b64 s[2:3], s[2:3], s[4:5]
	v_cndmask_b32_e64 v16, v16, v19, s[2:3]
	s_or_b64 s[46:47], s[0:1], s[46:47]
	v_cndmask_b32_e64 v6, v6, v21, s[2:3]
	s_andn2_b64 exec, exec, s[46:47]
	s_cbranch_execnz .LBB14_13
; %bb.14:                               ;   in Loop: Header=BB14_11 Depth=2
	s_or_b64 exec, exec, s[46:47]
	s_branch .LBB14_10
.LBB14_15:
	s_endpgm
	.section	.rodata,"a",@progbits
	.p2align	6, 0x0
	.amdhsa_kernel _ZN2at6native12_GLOBAL__N_121max_pool_forward_nchwIN3c108BFloat16EiEEvT0_PKT_llliiiiiiiiiiPS6_Pl
		.amdhsa_group_segment_fixed_size 0
		.amdhsa_private_segment_fixed_size 0
		.amdhsa_kernarg_size 352
		.amdhsa_user_sgpr_count 6
		.amdhsa_user_sgpr_private_segment_buffer 1
		.amdhsa_user_sgpr_dispatch_ptr 0
		.amdhsa_user_sgpr_queue_ptr 0
		.amdhsa_user_sgpr_kernarg_segment_ptr 1
		.amdhsa_user_sgpr_dispatch_id 0
		.amdhsa_user_sgpr_flat_scratch_init 0
		.amdhsa_user_sgpr_kernarg_preload_length 0
		.amdhsa_user_sgpr_kernarg_preload_offset 0
		.amdhsa_user_sgpr_private_segment_size 0
		.amdhsa_uses_dynamic_stack 0
		.amdhsa_system_sgpr_private_segment_wavefront_offset 0
		.amdhsa_system_sgpr_workgroup_id_x 1
		.amdhsa_system_sgpr_workgroup_id_y 0
		.amdhsa_system_sgpr_workgroup_id_z 0
		.amdhsa_system_sgpr_workgroup_info 0
		.amdhsa_system_vgpr_workitem_id 0
		.amdhsa_next_free_vgpr 24
		.amdhsa_next_free_sgpr 58
		.amdhsa_accum_offset 24
		.amdhsa_reserve_vcc 1
		.amdhsa_reserve_flat_scratch 0
		.amdhsa_float_round_mode_32 0
		.amdhsa_float_round_mode_16_64 0
		.amdhsa_float_denorm_mode_32 3
		.amdhsa_float_denorm_mode_16_64 3
		.amdhsa_dx10_clamp 1
		.amdhsa_ieee_mode 1
		.amdhsa_fp16_overflow 0
		.amdhsa_tg_split 0
		.amdhsa_exception_fp_ieee_invalid_op 0
		.amdhsa_exception_fp_denorm_src 0
		.amdhsa_exception_fp_ieee_div_zero 0
		.amdhsa_exception_fp_ieee_overflow 0
		.amdhsa_exception_fp_ieee_underflow 0
		.amdhsa_exception_fp_ieee_inexact 0
		.amdhsa_exception_int_div_zero 0
	.end_amdhsa_kernel
	.section	.text._ZN2at6native12_GLOBAL__N_121max_pool_forward_nchwIN3c108BFloat16EiEEvT0_PKT_llliiiiiiiiiiPS6_Pl,"axG",@progbits,_ZN2at6native12_GLOBAL__N_121max_pool_forward_nchwIN3c108BFloat16EiEEvT0_PKT_llliiiiiiiiiiPS6_Pl,comdat
.Lfunc_end14:
	.size	_ZN2at6native12_GLOBAL__N_121max_pool_forward_nchwIN3c108BFloat16EiEEvT0_PKT_llliiiiiiiiiiPS6_Pl, .Lfunc_end14-_ZN2at6native12_GLOBAL__N_121max_pool_forward_nchwIN3c108BFloat16EiEEvT0_PKT_llliiiiiiiiiiPS6_Pl
                                        ; -- End function
	.section	.AMDGPU.csdata,"",@progbits
; Kernel info:
; codeLenInByte = 2236
; NumSgprs: 62
; NumVgprs: 24
; NumAgprs: 0
; TotalNumVgprs: 24
; ScratchSize: 0
; MemoryBound: 0
; FloatMode: 240
; IeeeMode: 1
; LDSByteSize: 0 bytes/workgroup (compile time only)
; SGPRBlocks: 7
; VGPRBlocks: 2
; NumSGPRsForWavesPerEU: 62
; NumVGPRsForWavesPerEU: 24
; AccumOffset: 24
; Occupancy: 8
; WaveLimiterHint : 0
; COMPUTE_PGM_RSRC2:SCRATCH_EN: 0
; COMPUTE_PGM_RSRC2:USER_SGPR: 6
; COMPUTE_PGM_RSRC2:TRAP_HANDLER: 0
; COMPUTE_PGM_RSRC2:TGID_X_EN: 1
; COMPUTE_PGM_RSRC2:TGID_Y_EN: 0
; COMPUTE_PGM_RSRC2:TGID_Z_EN: 0
; COMPUTE_PGM_RSRC2:TIDIG_COMP_CNT: 0
; COMPUTE_PGM_RSRC3_GFX90A:ACCUM_OFFSET: 5
; COMPUTE_PGM_RSRC3_GFX90A:TG_SPLIT: 0
	.section	.text._ZN2at6native12_GLOBAL__N_121max_pool_forward_nchwIN3c108BFloat16ElEEvT0_PKT_llliiiiiiiiiiPS6_Pl,"axG",@progbits,_ZN2at6native12_GLOBAL__N_121max_pool_forward_nchwIN3c108BFloat16ElEEvT0_PKT_llliiiiiiiiiiPS6_Pl,comdat
	.globl	_ZN2at6native12_GLOBAL__N_121max_pool_forward_nchwIN3c108BFloat16ElEEvT0_PKT_llliiiiiiiiiiPS6_Pl ; -- Begin function _ZN2at6native12_GLOBAL__N_121max_pool_forward_nchwIN3c108BFloat16ElEEvT0_PKT_llliiiiiiiiiiPS6_Pl
	.p2align	8
	.type	_ZN2at6native12_GLOBAL__N_121max_pool_forward_nchwIN3c108BFloat16ElEEvT0_PKT_llliiiiiiiiiiPS6_Pl,@function
_ZN2at6native12_GLOBAL__N_121max_pool_forward_nchwIN3c108BFloat16ElEEvT0_PKT_llliiiiiiiiiiPS6_Pl: ; @_ZN2at6native12_GLOBAL__N_121max_pool_forward_nchwIN3c108BFloat16ElEEvT0_PKT_llliiiiiiiiiiPS6_Pl
; %bb.0:
	s_load_dword s2, s[4:5], 0x6c
	s_load_dwordx4 s[16:19], s[4:5], 0x0
	s_add_u32 s0, s4, 0x60
	v_mov_b32_e32 v2, 0
	s_addc_u32 s1, s5, 0
	s_waitcnt lgkmcnt(0)
	s_and_b32 s2, s2, 0xffff
	v_mov_b32_e32 v1, v2
	v_mov_b32_e32 v3, s6
	v_mad_u64_u32 v[0:1], s[6:7], s2, v3, v[0:1]
	v_cmp_gt_i64_e32 vcc, s[16:17], v[0:1]
	s_and_saveexec_b64 s[6:7], vcc
	s_cbranch_execz .LBB15_27
; %bb.1:
	s_load_dwordx8 s[8:15], s[4:5], 0x28
	s_load_dwordx4 s[20:23], s[4:5], 0x18
	s_load_dwordx2 s[6:7], s[4:5], 0x48
	s_load_dwordx4 s[24:27], s[4:5], 0x50
	s_load_dword s3, s[0:1], 0x0
	s_waitcnt lgkmcnt(0)
	v_cvt_f32_u32_e32 v3, s9
	s_add_i32 s0, s10, -1
	s_mul_i32 s51, s0, s6
	s_add_i32 s0, s11, -1
	s_mul_i32 s52, s0, s7
	s_ashr_i32 s11, s6, 31
	s_mov_b32 s10, s6
	v_rcp_iflag_f32_e32 v3, v3
	s_ashr_i32 s33, s9, 31
	s_ashr_i32 s42, s8, 31
	;; [unrolled: 1-line block ×5, first 2 shown]
	s_mov_b32 s48, s13
	s_ashr_i32 s49, s15, 31
	s_add_i32 s51, s51, 1
	s_add_i32 s52, s52, 1
	s_ashr_i32 s13, s7, 31
	v_cmp_gt_u64_e64 s[0:1], s[10:11], 1
	s_mov_b32 s44, s12
	s_mov_b32 s12, s7
	s_and_b64 s[0:1], s[0:1], exec
	v_cmp_gt_u64_e64 s[0:1], s[12:13], 1
	s_cselect_b32 s55, s11, 0
	s_cselect_b32 s56, s6, 1
	s_and_b64 s[0:1], s[0:1], exec
	v_mul_f32_e32 v3, 0x4f7ffffe, v3
	s_mul_i32 s0, s22, s21
	s_mul_hi_u32 s1, s22, s20
	v_cvt_u32_f32_e32 v18, v3
	s_cselect_b32 s57, s13, 0
	s_cselect_b32 s58, s7, 1
	s_add_i32 s0, s1, s0
	s_mul_i32 s1, s23, s20
	s_add_i32 s1, s0, s1
	s_mul_i32 s0, s22, s20
	s_mov_b32 s46, s14
	s_mov_b32 s50, s15
	s_mul_i32 s53, s3, s2
	s_mov_b32 s54, 0
	s_lshl_b64 s[14:15], s[0:1], 1
	s_lshl_b64 s[28:29], s[12:13], 1
	s_mov_b64 s[30:31], 0
	s_branch .LBB15_4
.LBB15_2:                               ;   in Loop: Header=BB15_4 Depth=1
	s_or_b64 exec, exec, s[36:37]
.LBB15_3:                               ;   in Loop: Header=BB15_4 Depth=1
	s_or_b64 exec, exec, s[34:35]
	v_lshlrev_b64 v[4:5], 1, v[0:1]
	v_mov_b32_e32 v3, s25
	v_add_co_u32_e32 v4, vcc, s24, v4
	v_addc_co_u32_e32 v5, vcc, v3, v5, vcc
	global_store_short v[4:5], v16, off
	v_lshlrev_b64 v[4:5], 3, v[0:1]
	v_mov_b32_e32 v3, s27
	v_add_co_u32_e32 v4, vcc, s26, v4
	v_addc_co_u32_e32 v5, vcc, v3, v5, vcc
	v_mov_b32_e32 v3, s54
	v_add_co_u32_e32 v0, vcc, s53, v0
	v_addc_co_u32_e32 v1, vcc, v1, v3, vcc
	v_cmp_le_i64_e32 vcc, s[16:17], v[0:1]
	s_or_b64 s[30:31], vcc, s[30:31]
	global_store_dwordx2 v[4:5], v[8:9], off
	s_andn2_b64 exec, exec, s[30:31]
	s_cbranch_execz .LBB15_27
.LBB15_4:                               ; =>This Loop Header: Depth=1
                                        ;     Child Loop BB15_23 Depth 2
                                        ;       Child Loop BB15_25 Depth 3
	v_or_b32_e32 v3, s33, v1
	v_cmp_ne_u64_e32 vcc, 0, v[2:3]
                                        ; implicit-def: $vgpr6_vgpr7
	s_and_saveexec_b64 s[0:1], vcc
	s_xor_b64 s[2:3], exec, s[0:1]
	s_cbranch_execz .LBB15_6
; %bb.5:                                ;   in Loop: Header=BB15_4 Depth=1
	s_add_u32 s0, s9, s33
	s_mov_b32 s4, s33
	s_mov_b32 s5, s33
	s_addc_u32 s1, s33, s33
	s_xor_b64 s[34:35], s[0:1], s[4:5]
	v_cvt_f32_u32_e32 v3, s34
	v_cvt_f32_u32_e32 v4, s35
	s_sub_u32 s0, 0, s34
	s_subb_u32 s1, 0, s35
	v_mac_f32_e32 v3, 0x4f800000, v4
	v_rcp_f32_e32 v3, v3
	v_mul_f32_e32 v3, 0x5f7ffffc, v3
	v_mul_f32_e32 v4, 0x2f800000, v3
	v_trunc_f32_e32 v4, v4
	v_mac_f32_e32 v3, 0xcf800000, v4
	v_cvt_u32_f32_e32 v4, v4
	v_cvt_u32_f32_e32 v3, v3
	v_mul_lo_u32 v5, s0, v4
	v_mul_hi_u32 v7, s0, v3
	v_mul_lo_u32 v6, s1, v3
	v_add_u32_e32 v5, v7, v5
	v_mul_lo_u32 v8, s0, v3
	v_add_u32_e32 v5, v5, v6
	v_mul_lo_u32 v7, v3, v5
	v_mul_hi_u32 v9, v3, v8
	v_mul_hi_u32 v6, v3, v5
	v_add_co_u32_e32 v7, vcc, v9, v7
	v_addc_co_u32_e32 v6, vcc, 0, v6, vcc
	v_mul_hi_u32 v10, v4, v8
	v_mul_lo_u32 v8, v4, v8
	v_add_co_u32_e32 v7, vcc, v7, v8
	v_mul_hi_u32 v9, v4, v5
	v_addc_co_u32_e32 v6, vcc, v6, v10, vcc
	v_addc_co_u32_e32 v7, vcc, 0, v9, vcc
	v_mul_lo_u32 v5, v4, v5
	v_add_co_u32_e32 v5, vcc, v6, v5
	v_addc_co_u32_e32 v6, vcc, 0, v7, vcc
	v_add_co_u32_e32 v3, vcc, v3, v5
	v_addc_co_u32_e32 v4, vcc, v4, v6, vcc
	v_mul_lo_u32 v5, s0, v4
	v_mul_hi_u32 v6, s0, v3
	v_add_u32_e32 v5, v6, v5
	v_mul_lo_u32 v6, s1, v3
	v_add_u32_e32 v5, v5, v6
	v_mul_lo_u32 v7, s0, v3
	v_mul_hi_u32 v8, v4, v7
	v_mul_lo_u32 v9, v4, v7
	v_mul_lo_u32 v11, v3, v5
	v_mul_hi_u32 v7, v3, v7
	v_mul_hi_u32 v10, v3, v5
	v_add_co_u32_e32 v7, vcc, v7, v11
	v_addc_co_u32_e32 v10, vcc, 0, v10, vcc
	v_add_co_u32_e32 v7, vcc, v7, v9
	v_mul_hi_u32 v6, v4, v5
	v_addc_co_u32_e32 v7, vcc, v10, v8, vcc
	v_addc_co_u32_e32 v6, vcc, 0, v6, vcc
	v_mul_lo_u32 v5, v4, v5
	v_add_co_u32_e32 v5, vcc, v7, v5
	v_addc_co_u32_e32 v6, vcc, 0, v6, vcc
	v_add_co_u32_e32 v3, vcc, v3, v5
	v_addc_co_u32_e32 v6, vcc, v4, v6, vcc
	v_ashrrev_i32_e32 v8, 31, v1
	v_add_co_u32_e32 v4, vcc, v0, v8
	v_addc_co_u32_e32 v5, vcc, v1, v8, vcc
	v_xor_b32_e32 v10, v4, v8
	v_xor_b32_e32 v9, v5, v8
	v_mad_u64_u32 v[4:5], s[0:1], v10, v6, 0
	v_mul_hi_u32 v7, v10, v3
	v_add_co_u32_e32 v11, vcc, v7, v4
	v_addc_co_u32_e32 v12, vcc, 0, v5, vcc
	v_mad_u64_u32 v[4:5], s[0:1], v9, v6, 0
	v_mad_u64_u32 v[6:7], s[0:1], v9, v3, 0
	v_add_co_u32_e32 v3, vcc, v11, v6
	v_addc_co_u32_e32 v3, vcc, v12, v7, vcc
	v_addc_co_u32_e32 v5, vcc, 0, v5, vcc
	v_add_co_u32_e32 v3, vcc, v3, v4
	v_addc_co_u32_e32 v6, vcc, 0, v5, vcc
	v_mul_lo_u32 v7, s35, v3
	v_mul_lo_u32 v11, s34, v6
	v_mad_u64_u32 v[4:5], s[0:1], s34, v3, 0
	v_add3_u32 v5, v5, v11, v7
	v_sub_u32_e32 v7, v9, v5
	v_mov_b32_e32 v11, s35
	v_sub_co_u32_e32 v4, vcc, v10, v4
	v_subb_co_u32_e64 v7, s[0:1], v7, v11, vcc
	v_subrev_co_u32_e64 v10, s[0:1], s34, v4
	v_subbrev_co_u32_e64 v7, s[0:1], 0, v7, s[0:1]
	v_cmp_le_u32_e64 s[0:1], s35, v7
	v_cndmask_b32_e64 v11, 0, -1, s[0:1]
	v_cmp_le_u32_e64 s[0:1], s34, v10
	v_cndmask_b32_e64 v10, 0, -1, s[0:1]
	v_cmp_eq_u32_e64 s[0:1], s35, v7
	v_cndmask_b32_e64 v7, v11, v10, s[0:1]
	v_add_co_u32_e64 v10, s[0:1], 2, v3
	v_subb_co_u32_e32 v5, vcc, v9, v5, vcc
	v_addc_co_u32_e64 v11, s[0:1], 0, v6, s[0:1]
	v_cmp_le_u32_e32 vcc, s35, v5
	v_add_co_u32_e64 v12, s[0:1], 1, v3
	v_cndmask_b32_e64 v9, 0, -1, vcc
	v_cmp_le_u32_e32 vcc, s34, v4
	v_addc_co_u32_e64 v13, s[0:1], 0, v6, s[0:1]
	v_cndmask_b32_e64 v4, 0, -1, vcc
	v_cmp_eq_u32_e32 vcc, s35, v5
	v_cmp_ne_u32_e64 s[0:1], 0, v7
	v_cndmask_b32_e32 v4, v9, v4, vcc
	v_cndmask_b32_e64 v7, v13, v11, s[0:1]
	v_cmp_ne_u32_e32 vcc, 0, v4
	v_cndmask_b32_e64 v5, v12, v10, s[0:1]
	v_cndmask_b32_e32 v4, v6, v7, vcc
	v_cndmask_b32_e32 v3, v3, v5, vcc
	v_xor_b32_e32 v6, s4, v8
	v_xor_b32_e32 v5, s5, v8
	;; [unrolled: 1-line block ×4, first 2 shown]
	v_sub_co_u32_e32 v6, vcc, v3, v6
	v_subb_co_u32_e32 v7, vcc, v4, v5, vcc
.LBB15_6:                               ;   in Loop: Header=BB15_4 Depth=1
	s_andn2_saveexec_b64 s[0:1], s[2:3]
	s_cbranch_execz .LBB15_8
; %bb.7:                                ;   in Loop: Header=BB15_4 Depth=1
	s_sub_i32 s2, 0, s9
	v_mul_lo_u32 v3, s2, v18
	v_mul_hi_u32 v3, v18, v3
	v_add_u32_e32 v3, v18, v3
	v_mul_hi_u32 v3, v0, v3
	v_mul_lo_u32 v4, v3, s9
	v_sub_u32_e32 v4, v0, v4
	v_subrev_u32_e32 v5, s9, v4
	v_cmp_le_u32_e32 vcc, s9, v4
	v_cndmask_b32_e32 v4, v4, v5, vcc
	v_add_u32_e32 v5, 1, v3
	v_cndmask_b32_e32 v3, v3, v5, vcc
	v_add_u32_e32 v5, 1, v3
	v_cmp_le_u32_e32 vcc, s9, v4
	v_cndmask_b32_e32 v6, v3, v5, vcc
	v_mov_b32_e32 v7, v2
.LBB15_8:                               ;   in Loop: Header=BB15_4 Depth=1
	s_or_b64 exec, exec, s[0:1]
	v_or_b32_e32 v3, s42, v7
	v_cmp_ne_u64_e32 vcc, 0, v[2:3]
                                        ; implicit-def: $vgpr4_vgpr5
	s_and_saveexec_b64 s[0:1], vcc
	s_xor_b64 s[2:3], exec, s[0:1]
	s_cbranch_execz .LBB15_10
; %bb.9:                                ;   in Loop: Header=BB15_4 Depth=1
	s_add_u32 s0, s8, s42
	s_mov_b32 s4, s42
	s_mov_b32 s5, s42
	s_addc_u32 s1, s42, s42
	s_xor_b64 s[34:35], s[0:1], s[4:5]
	v_cvt_f32_u32_e32 v3, s34
	v_cvt_f32_u32_e32 v4, s35
	s_sub_u32 s0, 0, s34
	s_subb_u32 s1, 0, s35
	v_mac_f32_e32 v3, 0x4f800000, v4
	v_rcp_f32_e32 v3, v3
	v_mul_f32_e32 v3, 0x5f7ffffc, v3
	v_mul_f32_e32 v4, 0x2f800000, v3
	v_trunc_f32_e32 v4, v4
	v_mac_f32_e32 v3, 0xcf800000, v4
	v_cvt_u32_f32_e32 v4, v4
	v_cvt_u32_f32_e32 v3, v3
	v_mul_lo_u32 v5, s0, v4
	v_mul_hi_u32 v9, s0, v3
	v_mul_lo_u32 v8, s1, v3
	v_add_u32_e32 v5, v9, v5
	v_mul_lo_u32 v10, s0, v3
	v_add_u32_e32 v5, v5, v8
	v_mul_lo_u32 v9, v3, v5
	v_mul_hi_u32 v11, v3, v10
	v_mul_hi_u32 v8, v3, v5
	v_add_co_u32_e32 v9, vcc, v11, v9
	v_addc_co_u32_e32 v8, vcc, 0, v8, vcc
	v_mul_hi_u32 v12, v4, v10
	v_mul_lo_u32 v10, v4, v10
	v_add_co_u32_e32 v9, vcc, v9, v10
	v_mul_hi_u32 v11, v4, v5
	v_addc_co_u32_e32 v8, vcc, v8, v12, vcc
	v_addc_co_u32_e32 v9, vcc, 0, v11, vcc
	v_mul_lo_u32 v5, v4, v5
	v_add_co_u32_e32 v5, vcc, v8, v5
	v_addc_co_u32_e32 v8, vcc, 0, v9, vcc
	v_add_co_u32_e32 v3, vcc, v3, v5
	v_addc_co_u32_e32 v4, vcc, v4, v8, vcc
	v_mul_lo_u32 v5, s0, v4
	v_mul_hi_u32 v8, s0, v3
	v_add_u32_e32 v5, v8, v5
	v_mul_lo_u32 v8, s1, v3
	v_add_u32_e32 v5, v5, v8
	v_mul_lo_u32 v9, s0, v3
	v_mul_hi_u32 v10, v4, v9
	v_mul_lo_u32 v11, v4, v9
	v_mul_lo_u32 v13, v3, v5
	v_mul_hi_u32 v9, v3, v9
	v_mul_hi_u32 v12, v3, v5
	v_add_co_u32_e32 v9, vcc, v9, v13
	v_addc_co_u32_e32 v12, vcc, 0, v12, vcc
	v_add_co_u32_e32 v9, vcc, v9, v11
	v_mul_hi_u32 v8, v4, v5
	v_addc_co_u32_e32 v9, vcc, v12, v10, vcc
	v_addc_co_u32_e32 v8, vcc, 0, v8, vcc
	v_mul_lo_u32 v5, v4, v5
	v_add_co_u32_e32 v5, vcc, v9, v5
	v_addc_co_u32_e32 v8, vcc, 0, v8, vcc
	v_add_co_u32_e32 v3, vcc, v3, v5
	v_addc_co_u32_e32 v8, vcc, v4, v8, vcc
	v_ashrrev_i32_e32 v10, 31, v7
	v_add_co_u32_e32 v4, vcc, v6, v10
	v_addc_co_u32_e32 v5, vcc, v7, v10, vcc
	v_xor_b32_e32 v12, v4, v10
	v_xor_b32_e32 v11, v5, v10
	v_mad_u64_u32 v[4:5], s[0:1], v12, v8, 0
	v_mul_hi_u32 v9, v12, v3
	v_add_co_u32_e32 v13, vcc, v9, v4
	v_addc_co_u32_e32 v14, vcc, 0, v5, vcc
	v_mad_u64_u32 v[4:5], s[0:1], v11, v8, 0
	v_mad_u64_u32 v[8:9], s[0:1], v11, v3, 0
	v_add_co_u32_e32 v3, vcc, v13, v8
	v_addc_co_u32_e32 v3, vcc, v14, v9, vcc
	v_addc_co_u32_e32 v5, vcc, 0, v5, vcc
	v_add_co_u32_e32 v3, vcc, v3, v4
	v_addc_co_u32_e32 v8, vcc, 0, v5, vcc
	v_mul_lo_u32 v9, s35, v3
	v_mul_lo_u32 v13, s34, v8
	v_mad_u64_u32 v[4:5], s[0:1], s34, v3, 0
	v_add3_u32 v5, v5, v13, v9
	v_sub_u32_e32 v9, v11, v5
	v_mov_b32_e32 v13, s35
	v_sub_co_u32_e32 v4, vcc, v12, v4
	v_subb_co_u32_e64 v9, s[0:1], v9, v13, vcc
	v_subrev_co_u32_e64 v12, s[0:1], s34, v4
	v_subbrev_co_u32_e64 v9, s[0:1], 0, v9, s[0:1]
	v_cmp_le_u32_e64 s[0:1], s35, v9
	v_cndmask_b32_e64 v13, 0, -1, s[0:1]
	v_cmp_le_u32_e64 s[0:1], s34, v12
	v_cndmask_b32_e64 v12, 0, -1, s[0:1]
	v_cmp_eq_u32_e64 s[0:1], s35, v9
	v_cndmask_b32_e64 v9, v13, v12, s[0:1]
	v_add_co_u32_e64 v12, s[0:1], 2, v3
	v_subb_co_u32_e32 v5, vcc, v11, v5, vcc
	v_addc_co_u32_e64 v13, s[0:1], 0, v8, s[0:1]
	v_cmp_le_u32_e32 vcc, s35, v5
	v_add_co_u32_e64 v14, s[0:1], 1, v3
	v_cndmask_b32_e64 v11, 0, -1, vcc
	v_cmp_le_u32_e32 vcc, s34, v4
	v_addc_co_u32_e64 v15, s[0:1], 0, v8, s[0:1]
	v_cndmask_b32_e64 v4, 0, -1, vcc
	v_cmp_eq_u32_e32 vcc, s35, v5
	v_cmp_ne_u32_e64 s[0:1], 0, v9
	v_cndmask_b32_e32 v4, v11, v4, vcc
	v_cndmask_b32_e64 v9, v15, v13, s[0:1]
	v_cmp_ne_u32_e32 vcc, 0, v4
	v_cndmask_b32_e64 v5, v14, v12, s[0:1]
	v_cndmask_b32_e32 v4, v8, v9, vcc
	v_cndmask_b32_e32 v3, v3, v5, vcc
	v_xor_b32_e32 v8, s4, v10
	v_xor_b32_e32 v5, s5, v10
	;; [unrolled: 1-line block ×4, first 2 shown]
	v_sub_co_u32_e32 v4, vcc, v3, v8
	v_subb_co_u32_e32 v5, vcc, v9, v5, vcc
.LBB15_10:                              ;   in Loop: Header=BB15_4 Depth=1
	s_andn2_saveexec_b64 s[0:1], s[2:3]
	s_cbranch_execz .LBB15_12
; %bb.11:                               ;   in Loop: Header=BB15_4 Depth=1
	v_cvt_f32_u32_e32 v3, s8
	s_sub_i32 s2, 0, s8
	v_rcp_iflag_f32_e32 v3, v3
	v_mul_f32_e32 v3, 0x4f7ffffe, v3
	v_cvt_u32_f32_e32 v3, v3
	v_mul_lo_u32 v4, s2, v3
	v_mul_hi_u32 v4, v3, v4
	v_add_u32_e32 v3, v3, v4
	v_mul_hi_u32 v3, v6, v3
	v_mul_lo_u32 v4, v3, s8
	v_sub_u32_e32 v4, v6, v4
	v_add_u32_e32 v5, 1, v3
	v_subrev_u32_e32 v8, s8, v4
	v_cmp_le_u32_e32 vcc, s8, v4
	v_cndmask_b32_e32 v4, v4, v8, vcc
	v_cndmask_b32_e32 v3, v3, v5, vcc
	v_add_u32_e32 v5, 1, v3
	v_cmp_le_u32_e32 vcc, s8, v4
	v_cndmask_b32_e32 v4, v3, v5, vcc
	v_mov_b32_e32 v5, v2
.LBB15_12:                              ;   in Loop: Header=BB15_4 Depth=1
	s_or_b64 exec, exec, s[0:1]
	v_mul_lo_u32 v3, v5, s8
	v_mul_lo_u32 v10, v4, s42
	v_mad_u64_u32 v[8:9], s[0:1], v4, s8, 0
	v_add3_u32 v3, v9, v10, v3
	v_sub_co_u32_e32 v14, vcc, v6, v8
	v_subb_co_u32_e32 v3, vcc, v7, v3, vcc
	v_mul_lo_u32 v3, v3, s44
	v_mul_lo_u32 v16, v14, s43
	v_mad_u64_u32 v[10:11], s[0:1], v14, s44, 0
	v_add3_u32 v11, v11, v16, v3
	v_mov_b32_e32 v13, s45
	v_subrev_co_u32_e32 v8, vcc, s46, v10
	v_subb_co_u32_e32 v9, vcc, v11, v13, vcc
	v_cmp_lt_i64_e32 vcc, 0, v[8:9]
	v_cndmask_b32_e32 v12, 0, v8, vcc
	v_cndmask_b32_e32 v15, 0, v9, vcc
	v_add_co_u32_e32 v12, vcc, s46, v12
	v_addc_co_u32_e32 v13, vcc, v15, v13, vcc
	v_cmp_ne_u64_e32 vcc, v[12:13], v[10:11]
	v_cndmask_b32_e64 v10, 0, 1, vcc
	v_mov_b32_e32 v11, s54
	v_mad_u64_u32 v[14:15], s[0:1], v14, s44, v[10:11]
	v_add3_u32 v3, v3, v15, v16
	v_sub_co_u32_e32 v11, vcc, v12, v14
	v_subb_co_u32_e32 v14, vcc, v13, v3, vcc
	v_or_b32_e32 v3, s55, v14
	v_cmp_ne_u64_e32 vcc, 0, v[2:3]
                                        ; implicit-def: $vgpr12_vgpr13
	s_and_saveexec_b64 s[0:1], vcc
	s_xor_b64 s[2:3], exec, s[0:1]
	s_cbranch_execz .LBB15_14
; %bb.13:                               ;   in Loop: Header=BB15_4 Depth=1
	v_cvt_f32_u32_e32 v3, s56
	v_cvt_f32_u32_e32 v12, s55
	s_sub_u32 s0, 0, s56
	s_subb_u32 s1, 0, s55
	v_mac_f32_e32 v3, 0x4f800000, v12
	v_rcp_f32_e32 v3, v3
	v_mul_f32_e32 v3, 0x5f7ffffc, v3
	v_mul_f32_e32 v12, 0x2f800000, v3
	v_trunc_f32_e32 v12, v12
	v_mac_f32_e32 v3, 0xcf800000, v12
	v_cvt_u32_f32_e32 v12, v12
	v_cvt_u32_f32_e32 v3, v3
	v_mul_lo_u32 v13, s0, v12
	v_mul_hi_u32 v16, s0, v3
	v_mul_lo_u32 v15, s1, v3
	v_add_u32_e32 v13, v16, v13
	v_mul_lo_u32 v17, s0, v3
	v_add_u32_e32 v13, v13, v15
	v_mul_hi_u32 v16, v3, v17
	v_mul_lo_u32 v19, v3, v13
	v_mul_hi_u32 v15, v3, v13
	v_add_co_u32_e32 v16, vcc, v16, v19
	v_addc_co_u32_e32 v15, vcc, 0, v15, vcc
	v_mul_hi_u32 v20, v12, v17
	v_mul_lo_u32 v17, v12, v17
	v_add_co_u32_e32 v16, vcc, v16, v17
	v_mul_hi_u32 v19, v12, v13
	v_addc_co_u32_e32 v15, vcc, v15, v20, vcc
	v_addc_co_u32_e32 v16, vcc, 0, v19, vcc
	v_mul_lo_u32 v13, v12, v13
	v_add_co_u32_e32 v13, vcc, v15, v13
	v_addc_co_u32_e32 v15, vcc, 0, v16, vcc
	v_add_co_u32_e32 v3, vcc, v3, v13
	v_addc_co_u32_e32 v12, vcc, v12, v15, vcc
	v_mul_lo_u32 v13, s0, v12
	v_mul_hi_u32 v15, s0, v3
	v_add_u32_e32 v13, v15, v13
	v_mul_lo_u32 v15, s1, v3
	v_add_u32_e32 v13, v13, v15
	v_mul_lo_u32 v16, s0, v3
	v_mul_hi_u32 v17, v12, v16
	v_mul_lo_u32 v19, v12, v16
	v_mul_lo_u32 v21, v3, v13
	v_mul_hi_u32 v16, v3, v16
	v_mul_hi_u32 v20, v3, v13
	v_add_co_u32_e32 v16, vcc, v16, v21
	v_addc_co_u32_e32 v20, vcc, 0, v20, vcc
	v_add_co_u32_e32 v16, vcc, v16, v19
	v_mul_hi_u32 v15, v12, v13
	v_addc_co_u32_e32 v16, vcc, v20, v17, vcc
	v_addc_co_u32_e32 v15, vcc, 0, v15, vcc
	v_mul_lo_u32 v13, v12, v13
	v_add_co_u32_e32 v13, vcc, v16, v13
	v_addc_co_u32_e32 v15, vcc, 0, v15, vcc
	v_add_co_u32_e32 v3, vcc, v3, v13
	v_addc_co_u32_e32 v15, vcc, v12, v15, vcc
	v_mad_u64_u32 v[12:13], s[0:1], v11, v15, 0
	v_mul_hi_u32 v16, v11, v3
	v_add_co_u32_e32 v19, vcc, v16, v12
	v_addc_co_u32_e32 v20, vcc, 0, v13, vcc
	v_mad_u64_u32 v[16:17], s[0:1], v14, v3, 0
	v_add_co_u32_e32 v3, vcc, v19, v16
	v_mad_u64_u32 v[12:13], s[0:1], v14, v15, 0
	v_addc_co_u32_e32 v3, vcc, v20, v17, vcc
	v_addc_co_u32_e32 v13, vcc, 0, v13, vcc
	v_add_co_u32_e32 v3, vcc, v3, v12
	v_addc_co_u32_e32 v15, vcc, 0, v13, vcc
	v_mul_lo_u32 v16, s55, v3
	v_mul_lo_u32 v17, s56, v15
	v_mad_u64_u32 v[12:13], s[0:1], s56, v3, 0
	v_add3_u32 v13, v13, v17, v16
	v_sub_u32_e32 v16, v14, v13
	v_mov_b32_e32 v17, s55
	v_sub_co_u32_e32 v11, vcc, v11, v12
	v_subb_co_u32_e64 v12, s[0:1], v16, v17, vcc
	v_subrev_co_u32_e64 v16, s[0:1], s56, v11
	v_subbrev_co_u32_e64 v12, s[0:1], 0, v12, s[0:1]
	v_cmp_le_u32_e64 s[0:1], s55, v12
	v_cndmask_b32_e64 v17, 0, -1, s[0:1]
	v_cmp_le_u32_e64 s[0:1], s56, v16
	v_cndmask_b32_e64 v16, 0, -1, s[0:1]
	v_cmp_eq_u32_e64 s[0:1], s55, v12
	v_cndmask_b32_e64 v12, v17, v16, s[0:1]
	v_add_co_u32_e64 v16, s[0:1], 2, v3
	v_subb_co_u32_e32 v13, vcc, v14, v13, vcc
	v_addc_co_u32_e64 v17, s[0:1], 0, v15, s[0:1]
	v_cmp_le_u32_e32 vcc, s55, v13
	v_add_co_u32_e64 v19, s[0:1], 1, v3
	v_cndmask_b32_e64 v14, 0, -1, vcc
	v_cmp_le_u32_e32 vcc, s56, v11
	v_addc_co_u32_e64 v20, s[0:1], 0, v15, s[0:1]
	v_cndmask_b32_e64 v11, 0, -1, vcc
	v_cmp_eq_u32_e32 vcc, s55, v13
	v_cmp_ne_u32_e64 s[0:1], 0, v12
	v_cndmask_b32_e32 v11, v14, v11, vcc
	v_cndmask_b32_e64 v12, v20, v17, s[0:1]
	v_cmp_ne_u32_e32 vcc, 0, v11
	v_cndmask_b32_e64 v11, v19, v16, s[0:1]
	v_cndmask_b32_e32 v13, v15, v12, vcc
	v_cndmask_b32_e32 v12, v3, v11, vcc
                                        ; implicit-def: $vgpr11
.LBB15_14:                              ;   in Loop: Header=BB15_4 Depth=1
	s_andn2_saveexec_b64 s[0:1], s[2:3]
	s_cbranch_execz .LBB15_16
; %bb.15:                               ;   in Loop: Header=BB15_4 Depth=1
	v_cvt_f32_u32_e32 v3, s56
	s_sub_i32 s2, 0, s56
	v_rcp_iflag_f32_e32 v3, v3
	v_mul_f32_e32 v3, 0x4f7ffffe, v3
	v_cvt_u32_f32_e32 v3, v3
	v_mul_lo_u32 v12, s2, v3
	v_mul_hi_u32 v12, v3, v12
	v_add_u32_e32 v3, v3, v12
	v_mul_hi_u32 v3, v11, v3
	v_mul_lo_u32 v12, v3, s56
	v_sub_u32_e32 v11, v11, v12
	v_add_u32_e32 v13, 1, v3
	v_subrev_u32_e32 v12, s56, v11
	v_cmp_le_u32_e32 vcc, s56, v11
	v_cndmask_b32_e32 v11, v11, v12, vcc
	v_cndmask_b32_e32 v3, v3, v13, vcc
	v_add_u32_e32 v12, 1, v3
	v_cmp_le_u32_e32 vcc, s56, v11
	v_cndmask_b32_e32 v12, v3, v12, vcc
	v_mov_b32_e32 v13, v2
.LBB15_16:                              ;   in Loop: Header=BB15_4 Depth=1
	s_or_b64 exec, exec, s[0:1]
	v_mul_lo_u32 v3, v7, s9
	v_mul_lo_u32 v11, v6, s33
	v_mad_u64_u32 v[6:7], s[0:1], v6, s9, 0
	v_add3_u32 v3, v7, v11, v3
	v_sub_co_u32_e32 v11, vcc, v0, v6
	v_subb_co_u32_e32 v3, vcc, v1, v3, vcc
	v_mul_lo_u32 v3, v3, s48
	v_mul_lo_u32 v19, v11, s47
	v_mad_u64_u32 v[14:15], s[0:1], v11, s48, 0
	v_add3_u32 v15, v15, v19, v3
	v_mov_b32_e32 v17, s49
	v_subrev_co_u32_e32 v6, vcc, s50, v14
	v_subb_co_u32_e32 v7, vcc, v15, v17, vcc
	v_cmp_lt_i64_e32 vcc, 0, v[6:7]
	v_cndmask_b32_e32 v16, 0, v6, vcc
	v_cndmask_b32_e32 v20, 0, v7, vcc
	v_add_co_u32_e32 v16, vcc, s50, v16
	v_addc_co_u32_e32 v17, vcc, v20, v17, vcc
	v_cmp_ne_u64_e32 vcc, v[16:17], v[14:15]
	v_cndmask_b32_e64 v14, 0, 1, vcc
	v_mov_b32_e32 v15, s54
	v_mad_u64_u32 v[20:21], s[0:1], v11, s48, v[14:15]
	v_add3_u32 v3, v3, v21, v19
	v_sub_co_u32_e32 v11, vcc, v16, v20
	v_subb_co_u32_e32 v15, vcc, v17, v3, vcc
	v_or_b32_e32 v3, s57, v15
	v_cmp_ne_u64_e32 vcc, 0, v[2:3]
                                        ; implicit-def: $vgpr16_vgpr17
	s_and_saveexec_b64 s[0:1], vcc
	s_xor_b64 s[2:3], exec, s[0:1]
	s_cbranch_execz .LBB15_18
; %bb.17:                               ;   in Loop: Header=BB15_4 Depth=1
	v_cvt_f32_u32_e32 v3, s58
	v_cvt_f32_u32_e32 v16, s57
	s_sub_u32 s0, 0, s58
	s_subb_u32 s1, 0, s57
	v_mac_f32_e32 v3, 0x4f800000, v16
	v_rcp_f32_e32 v3, v3
	v_mul_f32_e32 v3, 0x5f7ffffc, v3
	v_mul_f32_e32 v16, 0x2f800000, v3
	v_trunc_f32_e32 v16, v16
	v_mac_f32_e32 v3, 0xcf800000, v16
	v_cvt_u32_f32_e32 v16, v16
	v_cvt_u32_f32_e32 v3, v3
	v_mul_lo_u32 v17, s0, v16
	v_mul_hi_u32 v20, s0, v3
	v_mul_lo_u32 v19, s1, v3
	v_add_u32_e32 v17, v20, v17
	v_mul_lo_u32 v21, s0, v3
	v_add_u32_e32 v17, v17, v19
	v_mul_hi_u32 v20, v3, v21
	v_mul_lo_u32 v22, v3, v17
	v_mul_hi_u32 v19, v3, v17
	v_add_co_u32_e32 v20, vcc, v20, v22
	v_addc_co_u32_e32 v19, vcc, 0, v19, vcc
	v_mul_hi_u32 v23, v16, v21
	v_mul_lo_u32 v21, v16, v21
	v_add_co_u32_e32 v20, vcc, v20, v21
	v_mul_hi_u32 v22, v16, v17
	v_addc_co_u32_e32 v19, vcc, v19, v23, vcc
	v_addc_co_u32_e32 v20, vcc, 0, v22, vcc
	v_mul_lo_u32 v17, v16, v17
	v_add_co_u32_e32 v17, vcc, v19, v17
	v_addc_co_u32_e32 v19, vcc, 0, v20, vcc
	v_add_co_u32_e32 v3, vcc, v3, v17
	v_addc_co_u32_e32 v16, vcc, v16, v19, vcc
	v_mul_lo_u32 v17, s0, v16
	v_mul_hi_u32 v19, s0, v3
	v_add_u32_e32 v17, v19, v17
	v_mul_lo_u32 v19, s1, v3
	v_add_u32_e32 v17, v17, v19
	v_mul_lo_u32 v20, s0, v3
	v_mul_hi_u32 v21, v16, v20
	v_mul_lo_u32 v22, v16, v20
	v_mul_lo_u32 v24, v3, v17
	v_mul_hi_u32 v20, v3, v20
	v_mul_hi_u32 v23, v3, v17
	v_add_co_u32_e32 v20, vcc, v20, v24
	v_addc_co_u32_e32 v23, vcc, 0, v23, vcc
	v_add_co_u32_e32 v20, vcc, v20, v22
	v_mul_hi_u32 v19, v16, v17
	v_addc_co_u32_e32 v20, vcc, v23, v21, vcc
	v_addc_co_u32_e32 v19, vcc, 0, v19, vcc
	v_mul_lo_u32 v17, v16, v17
	v_add_co_u32_e32 v17, vcc, v20, v17
	v_addc_co_u32_e32 v19, vcc, 0, v19, vcc
	v_add_co_u32_e32 v3, vcc, v3, v17
	v_addc_co_u32_e32 v19, vcc, v16, v19, vcc
	v_mad_u64_u32 v[16:17], s[0:1], v11, v19, 0
	v_mul_hi_u32 v20, v11, v3
	v_add_co_u32_e32 v22, vcc, v20, v16
	v_addc_co_u32_e32 v23, vcc, 0, v17, vcc
	v_mad_u64_u32 v[20:21], s[0:1], v15, v3, 0
	v_add_co_u32_e32 v3, vcc, v22, v20
	v_mad_u64_u32 v[16:17], s[0:1], v15, v19, 0
	v_addc_co_u32_e32 v3, vcc, v23, v21, vcc
	v_addc_co_u32_e32 v17, vcc, 0, v17, vcc
	v_add_co_u32_e32 v3, vcc, v3, v16
	v_addc_co_u32_e32 v19, vcc, 0, v17, vcc
	v_mul_lo_u32 v20, s57, v3
	v_mul_lo_u32 v21, s58, v19
	v_mad_u64_u32 v[16:17], s[0:1], s58, v3, 0
	v_add3_u32 v17, v17, v21, v20
	v_sub_u32_e32 v20, v15, v17
	v_mov_b32_e32 v21, s57
	v_sub_co_u32_e32 v11, vcc, v11, v16
	v_subb_co_u32_e64 v16, s[0:1], v20, v21, vcc
	v_subrev_co_u32_e64 v20, s[0:1], s58, v11
	v_subbrev_co_u32_e64 v16, s[0:1], 0, v16, s[0:1]
	v_cmp_le_u32_e64 s[0:1], s57, v16
	v_cndmask_b32_e64 v21, 0, -1, s[0:1]
	v_cmp_le_u32_e64 s[0:1], s58, v20
	v_cndmask_b32_e64 v20, 0, -1, s[0:1]
	v_cmp_eq_u32_e64 s[0:1], s57, v16
	v_cndmask_b32_e64 v16, v21, v20, s[0:1]
	v_add_co_u32_e64 v20, s[0:1], 2, v3
	v_subb_co_u32_e32 v15, vcc, v15, v17, vcc
	v_addc_co_u32_e64 v21, s[0:1], 0, v19, s[0:1]
	v_cmp_le_u32_e32 vcc, s57, v15
	v_add_co_u32_e64 v22, s[0:1], 1, v3
	v_cndmask_b32_e64 v17, 0, -1, vcc
	v_cmp_le_u32_e32 vcc, s58, v11
	v_addc_co_u32_e64 v23, s[0:1], 0, v19, s[0:1]
	v_cndmask_b32_e64 v11, 0, -1, vcc
	v_cmp_eq_u32_e32 vcc, s57, v15
	v_cmp_ne_u32_e64 s[0:1], 0, v16
	v_cndmask_b32_e32 v11, v17, v11, vcc
	v_cndmask_b32_e64 v16, v23, v21, s[0:1]
	v_cmp_ne_u32_e32 vcc, 0, v11
	v_cndmask_b32_e64 v11, v22, v20, s[0:1]
	v_cndmask_b32_e32 v17, v19, v16, vcc
	v_cndmask_b32_e32 v16, v3, v11, vcc
                                        ; implicit-def: $vgpr11
.LBB15_18:                              ;   in Loop: Header=BB15_4 Depth=1
	s_andn2_saveexec_b64 s[0:1], s[2:3]
	s_cbranch_execz .LBB15_20
; %bb.19:                               ;   in Loop: Header=BB15_4 Depth=1
	v_cvt_f32_u32_e32 v3, s58
	s_sub_i32 s2, 0, s58
	v_mov_b32_e32 v17, v2
	v_rcp_iflag_f32_e32 v3, v3
	v_mul_f32_e32 v3, 0x4f7ffffe, v3
	v_cvt_u32_f32_e32 v3, v3
	v_mul_lo_u32 v15, s2, v3
	v_mul_hi_u32 v15, v3, v15
	v_add_u32_e32 v3, v3, v15
	v_mul_hi_u32 v3, v11, v3
	v_mul_lo_u32 v15, v3, s58
	v_sub_u32_e32 v11, v11, v15
	v_add_u32_e32 v16, 1, v3
	v_subrev_u32_e32 v15, s58, v11
	v_cmp_le_u32_e32 vcc, s58, v11
	v_cndmask_b32_e32 v11, v11, v15, vcc
	v_cndmask_b32_e32 v3, v3, v16, vcc
	v_add_u32_e32 v15, 1, v3
	v_cmp_le_u32_e32 vcc, s58, v11
	v_cndmask_b32_e32 v16, v3, v15, vcc
.LBB15_20:                              ;   in Loop: Header=BB15_4 Depth=1
	s_or_b64 exec, exec, s[0:1]
	v_add_co_u32_e32 v3, vcc, v12, v10
	v_addc_co_u32_e32 v10, vcc, 0, v13, vcc
	v_mul_lo_u32 v12, v3, s11
	v_mul_lo_u32 v13, v10, s10
	v_mad_u64_u32 v[10:11], s[0:1], v3, s10, v[8:9]
	v_add_co_u32_e32 v9, vcc, v16, v14
	v_add3_u32 v3, v13, v11, v12
	v_add_u32_e32 v8, s51, v8
	v_addc_co_u32_e32 v12, vcc, 0, v17, vcc
	v_min_i32_e32 v11, s20, v8
	v_mul_lo_u32 v8, v9, s13
	v_mul_lo_u32 v14, v12, s12
	v_mad_u64_u32 v[12:13], s[0:1], v9, s12, v[6:7]
	v_add3_u32 v13, v14, v13, v8
	v_mul_lo_u32 v3, v3, s22
	v_mad_u64_u32 v[8:9], s[0:1], v10, s22, v[12:13]
	v_mul_lo_u32 v7, v10, s23
	v_add3_u32 v9, v3, v9, v7
	v_cmp_gt_i32_e32 vcc, v11, v10
	v_mov_b32_e32 v16, 0xffffff80
	s_and_saveexec_b64 s[34:35], vcc
	s_cbranch_execz .LBB15_3
; %bb.21:                               ;   in Loop: Header=BB15_4 Depth=1
	v_add_u32_e32 v3, s52, v6
	v_pk_mov_b32 v[6:7], s[18:19], s[18:19] op_sel:[0,1]
	v_min_i32_e32 v17, s22, v3
	v_mad_u64_u32 v[6:7], s[0:1], s14, v4, v[6:7]
	v_mul_lo_u32 v5, s14, v5
	v_mul_lo_u32 v4, s15, v4
	v_ashrrev_i32_e32 v3, 31, v10
	v_cmp_gt_i32_e32 vcc, v17, v12
	v_add3_u32 v7, v4, v7, v5
	s_mov_b64 s[36:37], 0
	v_mov_b32_e32 v16, 0xffffff80
	s_branch .LBB15_23
.LBB15_22:                              ;   in Loop: Header=BB15_23 Depth=2
	s_or_b64 exec, exec, s[38:39]
	v_add_u32_e32 v10, s6, v10
	v_cmp_ge_i32_e64 s[0:1], v10, v11
	s_or_b64 s[36:37], s[0:1], s[36:37]
	v_ashrrev_i32_e32 v3, 31, v10
	s_andn2_b64 exec, exec, s[36:37]
	s_cbranch_execz .LBB15_2
.LBB15_23:                              ;   Parent Loop BB15_4 Depth=1
                                        ; =>  This Loop Header: Depth=2
                                        ;       Child Loop BB15_25 Depth 3
	s_and_saveexec_b64 s[38:39], vcc
	s_cbranch_execz .LBB15_22
; %bb.24:                               ;   in Loop: Header=BB15_23 Depth=2
	v_ashrrev_i32_e32 v13, 31, v12
	v_mul_lo_u32 v14, v10, s23
	v_mul_lo_u32 v3, v3, s22
	v_mad_u64_u32 v[4:5], s[0:1], v10, s22, v[12:13]
	v_add3_u32 v5, v3, v5, v14
	v_lshlrev_b64 v[14:15], 1, v[4:5]
	v_add_co_u32_e64 v14, s[0:1], v6, v14
	v_addc_co_u32_e64 v15, s[0:1], v7, v15, s[0:1]
	s_mov_b64 s[40:41], 0
	v_mov_b32_e32 v3, v12
.LBB15_25:                              ;   Parent Loop BB15_4 Depth=1
                                        ;     Parent Loop BB15_23 Depth=2
                                        ; =>    This Inner Loop Header: Depth=3
	global_load_ushort v13, v[14:15], off
	v_mov_b32_e32 v21, s29
	v_add_co_u32_e64 v14, s[0:1], s28, v14
	v_lshlrev_b32_e32 v19, 16, v16
	v_addc_co_u32_e64 v15, s[0:1], v15, v21, s[0:1]
	v_add_u32_e32 v3, s7, v3
	v_cmp_ge_i32_e64 s[0:1], v3, v17
	v_mov_b32_e32 v20, s13
	s_waitcnt vmcnt(0)
	v_lshlrev_b32_e32 v21, 16, v13
	v_cmp_gt_f32_e64 s[2:3], v21, v19
	v_cmp_u_f32_e64 s[4:5], v21, v21
	s_or_b64 s[2:3], s[2:3], s[4:5]
	v_cndmask_b32_e64 v8, v8, v4, s[2:3]
	s_or_b64 s[40:41], s[0:1], s[40:41]
	v_add_co_u32_e64 v4, s[0:1], s12, v4
	v_cndmask_b32_e64 v16, v16, v13, s[2:3]
	v_cndmask_b32_e64 v9, v9, v5, s[2:3]
	v_addc_co_u32_e64 v5, s[0:1], v5, v20, s[0:1]
	s_andn2_b64 exec, exec, s[40:41]
	s_cbranch_execnz .LBB15_25
; %bb.26:                               ;   in Loop: Header=BB15_23 Depth=2
	s_or_b64 exec, exec, s[40:41]
	s_branch .LBB15_22
.LBB15_27:
	s_endpgm
	.section	.rodata,"a",@progbits
	.p2align	6, 0x0
	.amdhsa_kernel _ZN2at6native12_GLOBAL__N_121max_pool_forward_nchwIN3c108BFloat16ElEEvT0_PKT_llliiiiiiiiiiPS6_Pl
		.amdhsa_group_segment_fixed_size 0
		.amdhsa_private_segment_fixed_size 0
		.amdhsa_kernarg_size 352
		.amdhsa_user_sgpr_count 6
		.amdhsa_user_sgpr_private_segment_buffer 1
		.amdhsa_user_sgpr_dispatch_ptr 0
		.amdhsa_user_sgpr_queue_ptr 0
		.amdhsa_user_sgpr_kernarg_segment_ptr 1
		.amdhsa_user_sgpr_dispatch_id 0
		.amdhsa_user_sgpr_flat_scratch_init 0
		.amdhsa_user_sgpr_kernarg_preload_length 0
		.amdhsa_user_sgpr_kernarg_preload_offset 0
		.amdhsa_user_sgpr_private_segment_size 0
		.amdhsa_uses_dynamic_stack 0
		.amdhsa_system_sgpr_private_segment_wavefront_offset 0
		.amdhsa_system_sgpr_workgroup_id_x 1
		.amdhsa_system_sgpr_workgroup_id_y 0
		.amdhsa_system_sgpr_workgroup_id_z 0
		.amdhsa_system_sgpr_workgroup_info 0
		.amdhsa_system_vgpr_workitem_id 0
		.amdhsa_next_free_vgpr 25
		.amdhsa_next_free_sgpr 59
		.amdhsa_accum_offset 28
		.amdhsa_reserve_vcc 1
		.amdhsa_reserve_flat_scratch 0
		.amdhsa_float_round_mode_32 0
		.amdhsa_float_round_mode_16_64 0
		.amdhsa_float_denorm_mode_32 3
		.amdhsa_float_denorm_mode_16_64 3
		.amdhsa_dx10_clamp 1
		.amdhsa_ieee_mode 1
		.amdhsa_fp16_overflow 0
		.amdhsa_tg_split 0
		.amdhsa_exception_fp_ieee_invalid_op 0
		.amdhsa_exception_fp_denorm_src 0
		.amdhsa_exception_fp_ieee_div_zero 0
		.amdhsa_exception_fp_ieee_overflow 0
		.amdhsa_exception_fp_ieee_underflow 0
		.amdhsa_exception_fp_ieee_inexact 0
		.amdhsa_exception_int_div_zero 0
	.end_amdhsa_kernel
	.section	.text._ZN2at6native12_GLOBAL__N_121max_pool_forward_nchwIN3c108BFloat16ElEEvT0_PKT_llliiiiiiiiiiPS6_Pl,"axG",@progbits,_ZN2at6native12_GLOBAL__N_121max_pool_forward_nchwIN3c108BFloat16ElEEvT0_PKT_llliiiiiiiiiiPS6_Pl,comdat
.Lfunc_end15:
	.size	_ZN2at6native12_GLOBAL__N_121max_pool_forward_nchwIN3c108BFloat16ElEEvT0_PKT_llliiiiiiiiiiPS6_Pl, .Lfunc_end15-_ZN2at6native12_GLOBAL__N_121max_pool_forward_nchwIN3c108BFloat16ElEEvT0_PKT_llliiiiiiiiiiPS6_Pl
                                        ; -- End function
	.section	.AMDGPU.csdata,"",@progbits
; Kernel info:
; codeLenInByte = 4212
; NumSgprs: 63
; NumVgprs: 25
; NumAgprs: 0
; TotalNumVgprs: 25
; ScratchSize: 0
; MemoryBound: 0
; FloatMode: 240
; IeeeMode: 1
; LDSByteSize: 0 bytes/workgroup (compile time only)
; SGPRBlocks: 7
; VGPRBlocks: 3
; NumSGPRsForWavesPerEU: 63
; NumVGPRsForWavesPerEU: 25
; AccumOffset: 28
; Occupancy: 8
; WaveLimiterHint : 0
; COMPUTE_PGM_RSRC2:SCRATCH_EN: 0
; COMPUTE_PGM_RSRC2:USER_SGPR: 6
; COMPUTE_PGM_RSRC2:TRAP_HANDLER: 0
; COMPUTE_PGM_RSRC2:TGID_X_EN: 1
; COMPUTE_PGM_RSRC2:TGID_Y_EN: 0
; COMPUTE_PGM_RSRC2:TGID_Z_EN: 0
; COMPUTE_PGM_RSRC2:TIDIG_COMP_CNT: 0
; COMPUTE_PGM_RSRC3_GFX90A:ACCUM_OFFSET: 6
; COMPUTE_PGM_RSRC3_GFX90A:TG_SPLIT: 0
	.section	.text._ZN2at6native12_GLOBAL__N_122max_pool_backward_nhwcIddEEvPKT_PKlillliiiiiiiiiiiiiiiPS3_,"axG",@progbits,_ZN2at6native12_GLOBAL__N_122max_pool_backward_nhwcIddEEvPKT_PKlillliiiiiiiiiiiiiiiPS3_,comdat
	.globl	_ZN2at6native12_GLOBAL__N_122max_pool_backward_nhwcIddEEvPKT_PKlillliiiiiiiiiiiiiiiPS3_ ; -- Begin function _ZN2at6native12_GLOBAL__N_122max_pool_backward_nhwcIddEEvPKT_PKlillliiiiiiiiiiiiiiiPS3_
	.p2align	8
	.type	_ZN2at6native12_GLOBAL__N_122max_pool_backward_nhwcIddEEvPKT_PKlillliiiiiiiiiiiiiiiPS3_,@function
_ZN2at6native12_GLOBAL__N_122max_pool_backward_nhwcIddEEvPKT_PKlillliiiiiiiiiiiiiiiPS3_: ; @_ZN2at6native12_GLOBAL__N_122max_pool_backward_nhwcIddEEvPKT_PKlillliiiiiiiiiiiiiiiPS3_
; %bb.0:
	s_load_dword s38, s[4:5], 0x10
	s_load_dwordx4 s[0:3], s[4:5], 0x7c
	s_load_dwordx8 s[12:19], s[4:5], 0x30
	s_load_dwordx8 s[20:27], s[4:5], 0x50
	v_and_b32_e32 v2, 0x3ff, v0
	s_waitcnt lgkmcnt(0)
	v_cvt_f32_u32_e32 v1, s38
	v_bfe_u32 v6, v0, 10, 10
	v_bfe_u32 v7, v0, 20, 10
	s_lshr_b32 s52, s2, 16
	v_rcp_iflag_f32_e32 v1, v1
	s_and_b32 s9, s2, 0xffff
	v_mad_u32_u24 v3, v7, s52, v6
	s_and_b32 s33, s3, 0xffff
	v_mul_f32_e32 v0, 0x4f7ffffe, v1
	v_cvt_u32_f32_e32 v4, v0
	v_mad_u64_u32 v[0:1], s[2:3], v3, s9, v[2:3]
	s_sub_i32 s2, 0, s38
	v_readfirstlane_b32 s3, v4
	s_mul_i32 s2, s2, s3
	s_mul_hi_u32 s2, s3, s2
	s_add_i32 s3, s3, s2
	s_mul_i32 s2, s9, s26
	s_mul_i32 s28, s2, s52
	;; [unrolled: 1-line block ×3, first 2 shown]
	s_mul_hi_u32 s27, s6, s3
	v_cmp_gt_u32_e32 vcc, s28, v0
	s_and_saveexec_b64 s[2:3], vcc
	s_cbranch_execz .LBB16_3
; %bb.1:
	s_mul_i32 s29, s52, s9
	s_mul_i32 s29, s29, s33
	v_mov_b32_e32 v4, 0
	v_lshl_add_u32 v1, v0, 3, 0
	s_lshl_b32 s30, s29, 3
	s_mov_b64 s[10:11], 0
	v_mov_b32_e32 v5, v4
.LBB16_2:                               ; =>This Inner Loop Header: Depth=1
	v_add_u32_e32 v0, s29, v0
	v_cmp_le_u32_e32 vcc, s28, v0
	ds_write_b64 v1, v[4:5]
	s_or_b64 s[10:11], vcc, s[10:11]
	v_add_u32_e32 v1, s30, v1
	s_andn2_b64 exec, exec, s[10:11]
	s_cbranch_execnz .LBB16_2
.LBB16_3:
	s_or_b64 exec, exec, s[2:3]
	s_load_dwordx4 s[28:31], s[4:5], 0x18
	s_load_dwordx2 s[10:11], s[4:5], 0x28
	s_mov_b32 s2, 0
	s_mov_b64 s[34:35], -1
	v_cvt_f32_ubyte0_e32 v0, 0
	s_waitcnt lgkmcnt(0)
	s_add_u32 s3, s30, s1
	s_addc_u32 s37, s31, 0
	s_add_u32 s36, s3, -1
	s_addc_u32 s3, s37, -1
	s_cmp_lg_u64 s[2:3], 0
	s_barrier
	s_cbranch_scc0 .LBB16_60
; %bb.4:
	v_cvt_f32_u32_e32 v1, s1
	s_sub_u32 s2, 0, s1
	s_subb_u32 s37, 0, 0
	v_madmk_f32 v1, v0, 0x4f800000, v1
	v_rcp_f32_e32 v1, v1
	v_mul_f32_e32 v1, 0x5f7ffffc, v1
	v_mul_f32_e32 v4, 0x2f800000, v1
	v_trunc_f32_e32 v4, v4
	v_madmk_f32 v1, v4, 0xcf800000, v1
	v_cvt_u32_f32_e32 v4, v4
	v_cvt_u32_f32_e32 v1, v1
	v_readfirstlane_b32 s39, v4
	v_readfirstlane_b32 s40, v1
	s_mul_i32 s41, s2, s39
	s_mul_hi_u32 s43, s2, s40
	s_mul_i32 s42, s37, s40
	s_add_i32 s41, s43, s41
	s_mul_i32 s44, s2, s40
	s_add_i32 s41, s41, s42
	s_mul_hi_u32 s42, s40, s41
	s_mul_i32 s43, s40, s41
	s_mul_hi_u32 s40, s40, s44
	s_add_u32 s40, s40, s43
	s_addc_u32 s42, 0, s42
	s_mul_hi_u32 s45, s39, s44
	s_mul_i32 s44, s39, s44
	s_add_u32 s40, s40, s44
	s_mul_hi_u32 s43, s39, s41
	s_addc_u32 s40, s42, s45
	s_addc_u32 s42, s43, 0
	s_mul_i32 s41, s39, s41
	s_add_u32 s40, s40, s41
	s_addc_u32 s41, 0, s42
	v_add_co_u32_e32 v1, vcc, s40, v1
	s_cmp_lg_u64 vcc, 0
	s_addc_u32 s39, s39, s41
	v_readfirstlane_b32 s41, v1
	s_mul_i32 s40, s2, s39
	s_mul_hi_u32 s42, s2, s41
	s_add_i32 s40, s42, s40
	s_mul_i32 s37, s37, s41
	s_add_i32 s40, s40, s37
	s_mul_i32 s2, s2, s41
	s_mul_hi_u32 s42, s39, s2
	s_mul_i32 s43, s39, s2
	s_mul_i32 s45, s41, s40
	s_mul_hi_u32 s2, s41, s2
	s_mul_hi_u32 s44, s41, s40
	s_add_u32 s2, s2, s45
	s_addc_u32 s41, 0, s44
	s_add_u32 s2, s2, s43
	s_mul_hi_u32 s37, s39, s40
	s_addc_u32 s2, s41, s42
	s_addc_u32 s37, s37, 0
	s_mul_i32 s40, s39, s40
	s_add_u32 s2, s2, s40
	s_addc_u32 s37, 0, s37
	v_add_co_u32_e32 v1, vcc, s2, v1
	s_cmp_lg_u64 vcc, 0
	s_addc_u32 s37, s39, s37
	s_ashr_i32 s40, s3, 31
	s_add_u32 s2, s36, s40
	s_mov_b32 s41, s40
	s_addc_u32 s3, s3, s40
	s_xor_b64 s[2:3], s[2:3], s[40:41]
	v_readfirstlane_b32 s43, v1
	s_mul_i32 s42, s2, s37
	s_mul_hi_u32 s44, s2, s43
	s_mul_hi_u32 s39, s2, s37
	s_add_u32 s42, s44, s42
	s_addc_u32 s39, 0, s39
	s_mul_hi_u32 s45, s3, s43
	s_mul_i32 s43, s3, s43
	s_add_u32 s42, s42, s43
	s_mul_hi_u32 s44, s3, s37
	s_addc_u32 s39, s39, s45
	s_addc_u32 s42, s44, 0
	s_mul_i32 s37, s3, s37
	s_add_u32 s37, s39, s37
	s_addc_u32 s39, 0, s42
	s_add_u32 s42, s37, 1
	s_addc_u32 s43, s39, 0
	s_add_u32 s44, s37, 2
	s_mul_i32 s46, s1, s39
	s_mul_hi_u32 s47, s1, s37
	s_addc_u32 s45, s39, 0
	s_add_i32 s47, s47, s46
	s_mul_i32 s46, s1, s37
	v_mov_b32_e32 v1, s46
	v_sub_co_u32_e32 v1, vcc, s2, v1
	s_cmp_lg_u64 vcc, 0
	s_subb_u32 s2, s3, s47
	v_subrev_co_u32_e32 v4, vcc, s1, v1
	s_cmp_lg_u64 vcc, 0
	s_subb_u32 s3, s2, 0
	v_readfirstlane_b32 s46, v4
	s_cmp_ge_u32 s46, s1
	s_cselect_b32 s46, -1, 0
	s_cmp_eq_u32 s3, 0
	s_cselect_b32 s3, s46, -1
	s_cmp_lg_u32 s3, 0
	s_cselect_b32 s3, s45, s43
	v_readfirstlane_b32 s43, v1
	s_cselect_b32 s42, s44, s42
	s_cmp_ge_u32 s43, s1
	s_cselect_b32 s43, -1, 0
	s_cmp_eq_u32 s2, 0
	s_cselect_b32 s2, s43, -1
	s_cmp_lg_u32 s2, 0
	s_cselect_b32 s3, s3, s39
	s_cselect_b32 s2, s42, s37
	s_xor_b64 s[2:3], s[2:3], s[40:41]
	s_sub_u32 s2, s2, s40
	s_subb_u32 s3, s3, s40
	s_cbranch_execnz .LBB16_6
.LBB16_5:
	v_cvt_f32_u32_e32 v1, s1
	s_sub_i32 s2, 0, s1
	s_mov_b32 s3, 0
	v_rcp_iflag_f32_e32 v1, v1
	v_mul_f32_e32 v1, 0x4f7ffffe, v1
	v_cvt_u32_f32_e32 v1, v1
	v_readfirstlane_b32 s34, v1
	s_mul_i32 s2, s2, s34
	s_mul_hi_u32 s2, s34, s2
	s_add_i32 s34, s34, s2
	s_mul_hi_u32 s2, s36, s34
	s_mul_i32 s35, s2, s1
	s_sub_i32 s35, s36, s35
	s_add_i32 s34, s2, 1
	s_sub_i32 s36, s35, s1
	s_cmp_ge_u32 s35, s1
	s_cselect_b32 s2, s34, s2
	s_cselect_b32 s35, s36, s35
	s_add_i32 s34, s2, 1
	s_cmp_ge_u32 s35, s1
	s_cselect_b32 s2, s34, s2
.LBB16_6:
	s_add_u32 s1, s10, s0
	s_addc_u32 s34, s11, 0
	s_add_u32 s1, s1, -1
	s_mov_b32 s36, 0
	s_addc_u32 s37, s34, -1
	s_cmp_lg_u64 s[36:37], 0
	s_mov_b64 s[34:35], -1
	s_cbranch_scc0 .LBB16_61
; %bb.7:
	v_cvt_f32_u32_e32 v1, s0
	s_sub_u32 s36, 0, s0
	s_subb_u32 s39, 0, 0
	v_madmk_f32 v0, v0, 0x4f800000, v1
	v_rcp_f32_e32 v0, v0
	v_mul_f32_e32 v0, 0x5f7ffffc, v0
	v_mul_f32_e32 v1, 0x2f800000, v0
	v_trunc_f32_e32 v1, v1
	v_madmk_f32 v0, v1, 0xcf800000, v0
	v_cvt_u32_f32_e32 v1, v1
	v_cvt_u32_f32_e32 v0, v0
	v_readfirstlane_b32 s40, v1
	v_readfirstlane_b32 s41, v0
	s_mul_i32 s42, s36, s40
	s_mul_hi_u32 s44, s36, s41
	s_mul_i32 s43, s39, s41
	s_add_i32 s42, s44, s42
	s_mul_i32 s45, s36, s41
	s_add_i32 s42, s42, s43
	s_mul_hi_u32 s43, s41, s42
	s_mul_i32 s44, s41, s42
	s_mul_hi_u32 s41, s41, s45
	s_add_u32 s41, s41, s44
	s_addc_u32 s43, 0, s43
	s_mul_hi_u32 s46, s40, s45
	s_mul_i32 s45, s40, s45
	s_add_u32 s41, s41, s45
	s_mul_hi_u32 s44, s40, s42
	s_addc_u32 s41, s43, s46
	s_addc_u32 s43, s44, 0
	s_mul_i32 s42, s40, s42
	s_add_u32 s41, s41, s42
	s_addc_u32 s42, 0, s43
	v_add_co_u32_e32 v0, vcc, s41, v0
	s_cmp_lg_u64 vcc, 0
	s_addc_u32 s40, s40, s42
	v_readfirstlane_b32 s42, v0
	s_mul_i32 s41, s36, s40
	s_mul_hi_u32 s43, s36, s42
	s_add_i32 s41, s43, s41
	s_mul_i32 s39, s39, s42
	s_add_i32 s41, s41, s39
	s_mul_i32 s36, s36, s42
	s_mul_hi_u32 s43, s40, s36
	s_mul_i32 s44, s40, s36
	s_mul_i32 s46, s42, s41
	s_mul_hi_u32 s36, s42, s36
	s_mul_hi_u32 s45, s42, s41
	s_add_u32 s36, s36, s46
	s_addc_u32 s42, 0, s45
	s_add_u32 s36, s36, s44
	s_mul_hi_u32 s39, s40, s41
	s_addc_u32 s36, s42, s43
	s_addc_u32 s39, s39, 0
	s_mul_i32 s41, s40, s41
	s_add_u32 s36, s36, s41
	s_addc_u32 s39, 0, s39
	v_add_co_u32_e32 v0, vcc, s36, v0
	s_cmp_lg_u64 vcc, 0
	s_addc_u32 s39, s40, s39
	s_ashr_i32 s40, s37, 31
	s_add_u32 s36, s1, s40
	s_mov_b32 s41, s40
	s_addc_u32 s37, s37, s40
	s_xor_b64 s[36:37], s[36:37], s[40:41]
	v_readfirstlane_b32 s44, v0
	s_mul_i32 s43, s36, s39
	s_mul_hi_u32 s45, s36, s44
	s_mul_hi_u32 s42, s36, s39
	s_add_u32 s43, s45, s43
	s_addc_u32 s42, 0, s42
	s_mul_hi_u32 s46, s37, s44
	s_mul_i32 s44, s37, s44
	s_add_u32 s43, s43, s44
	s_mul_hi_u32 s45, s37, s39
	s_addc_u32 s42, s42, s46
	s_addc_u32 s43, s45, 0
	s_mul_i32 s39, s37, s39
	s_add_u32 s39, s42, s39
	s_addc_u32 s42, 0, s43
	s_add_u32 s43, s39, 1
	s_addc_u32 s44, s42, 0
	s_add_u32 s45, s39, 2
	s_mul_i32 s47, s0, s42
	s_mul_hi_u32 s48, s0, s39
	s_addc_u32 s46, s42, 0
	s_add_i32 s48, s48, s47
	s_mul_i32 s47, s0, s39
	v_mov_b32_e32 v0, s47
	v_sub_co_u32_e32 v0, vcc, s36, v0
	s_cmp_lg_u64 vcc, 0
	s_subb_u32 s36, s37, s48
	v_subrev_co_u32_e32 v1, vcc, s0, v0
	s_cmp_lg_u64 vcc, 0
	s_subb_u32 s37, s36, 0
	v_readfirstlane_b32 s47, v1
	s_cmp_ge_u32 s47, s0
	s_cselect_b32 s47, -1, 0
	s_cmp_eq_u32 s37, 0
	s_cselect_b32 s37, s47, -1
	s_cmp_lg_u32 s37, 0
	s_cselect_b32 s37, s46, s44
	v_readfirstlane_b32 s44, v0
	s_cselect_b32 s43, s45, s43
	s_cmp_ge_u32 s44, s0
	s_cselect_b32 s44, -1, 0
	s_cmp_eq_u32 s36, 0
	s_cselect_b32 s36, s44, -1
	s_cmp_lg_u32 s36, 0
	s_cselect_b32 s37, s37, s42
	s_cselect_b32 s36, s43, s39
	s_xor_b64 s[36:37], s[36:37], s[40:41]
	s_sub_u32 s36, s36, s40
	s_subb_u32 s37, s37, s40
	s_cbranch_execnz .LBB16_9
.LBB16_8:
	v_cvt_f32_u32_e32 v0, s0
	s_sub_i32 s34, 0, s0
	s_mov_b32 s37, 0
	v_rcp_iflag_f32_e32 v0, v0
	v_mul_f32_e32 v0, 0x4f7ffffe, v0
	v_cvt_u32_f32_e32 v0, v0
	v_readfirstlane_b32 s35, v0
	s_mul_i32 s34, s34, s35
	s_mul_hi_u32 s34, s35, s34
	s_add_i32 s35, s35, s34
	s_mul_hi_u32 s34, s1, s35
	s_mul_i32 s36, s34, s0
	s_sub_i32 s1, s1, s36
	s_add_i32 s35, s34, 1
	s_sub_i32 s36, s1, s0
	s_cmp_ge_u32 s1, s0
	s_cselect_b32 s34, s35, s34
	s_cselect_b32 s1, s36, s1
	s_add_i32 s35, s34, 1
	s_cmp_ge_u32 s1, s0
	s_cselect_b32 s36, s35, s34
.LBB16_9:
	s_mul_i32 s8, s8, s2
	v_add_u32_e32 v28, s8, v7
	s_bfe_i64 s[0:1], s[2:3], 0x200000
	v_ashrrev_i32_e32 v1, 31, v28
	v_mov_b32_e32 v4, s1
	v_add_co_u32_e32 v0, vcc, s0, v28
	v_addc_co_u32_e32 v1, vcc, v4, v1, vcc
	v_mov_b32_e32 v4, s30
	v_cmp_gt_i64_e32 vcc, s[30:31], v[0:1]
	v_cndmask_b32_e32 v29, v4, v0, vcc
	v_cmp_lt_i32_e32 vcc, v28, v29
	s_and_saveexec_b64 s[0:1], vcc
	s_cbranch_execz .LBB16_59
; %bb.10:
	s_mul_i32 s7, s7, s36
	v_add_u32_e32 v30, s7, v6
	s_bfe_i64 s[0:1], s[36:37], 0x200000
	v_mov_b32_e32 v4, s1
	v_add_co_u32_e32 v0, vcc, s0, v30
	s_load_dwordx4 s[0:3], s[4:5], 0x0
	s_load_dwordx2 s[34:35], s[4:5], 0x70
	s_mul_i32 s4, s27, s38
	s_sub_i32 s4, s6, s4
	s_add_i32 s5, s27, 1
	s_sub_i32 s7, s4, s38
	s_cmp_ge_u32 s4, s38
	s_cselect_b32 s5, s5, s27
	s_cselect_b32 s4, s7, s4
	s_add_i32 s7, s5, 1
	s_cmp_ge_u32 s4, s38
	s_cselect_b32 s7, s7, s5
	s_mul_i32 s5, s30, s29
	s_mul_hi_u32 s8, s30, s28
	v_ashrrev_i32_e32 v1, 31, v30
	s_add_i32 s5, s8, s5
	s_mul_i32 s8, s31, s28
	v_addc_co_u32_e32 v1, vcc, v4, v1, vcc
	s_mul_i32 s4, s7, s38
	s_add_i32 s5, s5, s8
	s_mul_i32 s8, s30, s28
	v_cmp_gt_i64_e32 vcc, s[10:11], v[0:1]
	s_sub_i32 s6, s6, s4
	s_mul_i32 s11, s8, s11
	s_mul_hi_u32 s27, s8, s10
	s_ashr_i32 s4, s6, 31
	s_add_i32 s11, s27, s11
	s_mul_i32 s5, s5, s10
	s_mul_i32 s8, s8, s10
	s_add_i32 s5, s11, s5
	s_mul_i32 s4, s8, s4
	s_mul_hi_u32 s11, s8, s6
	s_mul_i32 s5, s5, s6
	s_add_i32 s4, s11, s4
	s_add_i32 s5, s4, s5
	s_mul_i32 s4, s8, s6
	s_lshl_b64 s[4:5], s[4:5], 3
	s_waitcnt lgkmcnt(0)
	s_add_u32 s11, s34, s4
	s_mul_i32 s4, s13, s12
	s_mul_i32 s4, s4, s6
	s_addc_u32 s53, s35, s5
	s_ashr_i32 s5, s4, 31
	s_mul_i32 s6, s4, s29
	s_mul_hi_u32 s8, s4, s28
	s_add_i32 s6, s8, s6
	s_mul_i32 s5, s5, s28
	s_add_i32 s5, s6, s5
	s_mul_i32 s4, s4, s28
	s_lshl_b64 s[4:5], s[4:5], 3
	s_add_u32 s54, s2, s4
	s_addc_u32 s55, s3, s5
	s_add_u32 s56, s0, s4
	v_mov_b32_e32 v4, s10
	s_addc_u32 s57, s1, s5
	s_abs_i32 s61, s16
	v_cndmask_b32_e32 v31, v4, v0, vcc
	v_cvt_f32_u32_e32 v4, s61
	s_abs_i32 s64, s17
	v_cvt_f32_u32_e32 v5, s64
	s_sub_i32 s2, 0, s61
	v_rcp_iflag_f32_e32 v4, v4
	s_mul_i32 s0, s7, s9
	v_rcp_iflag_f32_e32 v5, v5
	v_mul_lo_u32 v3, s26, v3
	v_mul_f32_e32 v4, 0x4f7ffffe, v4
	v_cvt_u32_f32_e32 v4, v4
	v_mul_f32_e32 v5, 0x4f7ffffe, v5
	v_cvt_u32_f32_e32 v5, v5
	v_add_u32_e32 v0, s0, v2
	v_mul_lo_u32 v6, s2, v4
	v_mul_hi_u32 v6, v4, v6
	s_sub_i32 s2, 0, s64
	v_add_u32_e32 v32, v4, v6
	v_mul_lo_u32 v4, s2, v5
	s_add_i32 s2, s7, s25
	s_add_i32 s58, s14, -1
	s_add_i32 s60, s15, -1
	s_mul_i32 s2, s2, s9
	v_mul_lo_u32 v3, v3, s9
	s_mul_i32 s58, s58, s20
	s_mul_i32 s60, s60, s21
	v_ashrrev_i32_e32 v1, 31, v0
	v_mul_hi_u32 v4, v5, v4
	v_mul_lo_u32 v34, s22, v0
	s_mul_i32 s22, s25, s22
	v_add_u32_e32 v35, s2, v2
	v_lshlrev_b32_e32 v3, 3, v3
	v_lshlrev_b32_e32 v2, 3, v2
	s_not_b32 s59, s58
	v_cmp_lt_i32_e32 vcc, v30, v31
	s_not_b32 s62, s60
	v_cmp_gt_i64_e64 s[0:1], s[28:29], v[0:1]
	s_mul_i32 s63, s9, s25
	s_ashr_i32 s65, s16, 31
	s_ashr_i32 s66, s17, 31
	v_add_u32_e32 v33, v5, v4
	s_mul_i32 s22, s22, s9
	v_add3_u32 v36, v3, v2, 0
	s_lshl_b32 s25, s9, 3
	s_mov_b64 s[14:15], 0
	v_mov_b32_e32 v2, 0
                                        ; implicit-def: $vgpr4_vgpr5
                                        ; implicit-def: $vgpr6_vgpr7
                                        ; implicit-def: $vgpr8_vgpr9
                                        ; implicit-def: $vgpr10_vgpr11
	s_branch .LBB16_13
.LBB16_11:                              ;   in Loop: Header=BB16_13 Depth=1
	s_or_b64 exec, exec, s[20:21]
.LBB16_12:                              ;   in Loop: Header=BB16_13 Depth=1
	s_or_b64 exec, exec, s[16:17]
	v_add_u32_e32 v28, s33, v28
	v_cmp_ge_i32_e64 s[2:3], v28, v29
	s_or_b64 s[14:15], s[2:3], s[14:15]
	s_andn2_b64 exec, exec, s[14:15]
	s_cbranch_execz .LBB16_59
.LBB16_13:                              ; =>This Loop Header: Depth=1
                                        ;     Child Loop BB16_19 Depth 2
                                        ;       Child Loop BB16_28 Depth 3
                                        ;         Child Loop BB16_31 Depth 4
                                        ;           Child Loop BB16_34 Depth 5
                                        ;       Child Loop BB16_40 Depth 3
                                        ;       Child Loop BB16_51 Depth 3
	;; [unrolled: 1-line block ×3, first 2 shown]
	v_add_u32_e32 v3, s18, v28
	v_cmp_lt_i32_e64 s[2:3], s58, v3
	v_mov_b32_e32 v37, v2
	s_and_saveexec_b64 s[4:5], s[2:3]
	s_cbranch_execz .LBB16_15
; %bb.14:                               ;   in Loop: Header=BB16_13 Depth=1
	v_add_u32_e32 v12, s59, v3
	v_sub_u32_e32 v14, 0, v12
	v_ashrrev_i32_e32 v13, 31, v12
	v_max_i32_e32 v12, v12, v14
	v_mul_hi_u32 v14, v12, v32
	v_mul_lo_u32 v15, v14, s61
	v_sub_u32_e32 v12, v12, v15
	v_add_u32_e32 v15, 1, v14
	v_cmp_le_u32_e64 s[2:3], s61, v12
	v_cndmask_b32_e64 v14, v14, v15, s[2:3]
	v_subrev_u32_e32 v15, s61, v12
	v_cndmask_b32_e64 v12, v12, v15, s[2:3]
	v_add_u32_e32 v15, 1, v14
	v_cmp_le_u32_e64 s[2:3], s61, v12
	v_xor_b32_e32 v13, s65, v13
	v_cndmask_b32_e64 v12, v14, v15, s[2:3]
	v_xor_b32_e32 v12, v12, v13
	v_sub_u32_e32 v12, v12, v13
	v_add_u32_e32 v37, 1, v12
.LBB16_15:                              ;   in Loop: Header=BB16_13 Depth=1
	s_or_b64 exec, exec, s[4:5]
	s_and_saveexec_b64 s[16:17], vcc
	s_cbranch_execz .LBB16_12
; %bb.16:                               ;   in Loop: Header=BB16_13 Depth=1
	v_sub_u32_e32 v13, 0, v3
	v_ashrrev_i32_e32 v12, 31, v3
	v_max_i32_e32 v3, v3, v13
	v_mul_hi_u32 v13, v3, v32
	v_mul_lo_u32 v14, v13, s61
	v_sub_u32_e32 v3, v3, v14
	v_add_u32_e32 v14, 1, v13
	v_cmp_le_u32_e64 s[2:3], s61, v3
	v_cndmask_b32_e64 v13, v13, v14, s[2:3]
	v_subrev_u32_e32 v14, s61, v3
	v_cndmask_b32_e64 v3, v3, v14, s[2:3]
	v_add_u32_e32 v14, 1, v13
	v_cmp_le_u32_e64 s[2:3], s61, v3
	v_xor_b32_e32 v12, s65, v12
	v_cndmask_b32_e64 v3, v13, v14, s[2:3]
	v_xor_b32_e32 v3, v3, v12
	v_sub_u32_e32 v3, v3, v12
	v_add_u32_e32 v3, 1, v3
	v_min_i32_e32 v38, s12, v3
	v_sub_u32_e32 v12, v38, v37
	v_cmp_gt_i32_e64 s[8:9], 3, v12
	v_mul_lo_u32 v12, v37, s23
	v_ashrrev_i32_e32 v13, 31, v12
	v_lshlrev_b64 v[14:15], 3, v[12:13]
	v_mov_b32_e32 v16, s55
	v_add_co_u32_e64 v13, s[4:5], s54, v14
	v_add_u32_e32 v3, 1, v37
	v_addc_co_u32_e64 v40, s[4:5], v16, v15, s[4:5]
	v_add_u32_e32 v16, s23, v12
	v_cmp_eq_u32_e64 s[6:7], v3, v38
	v_ashrrev_i32_e32 v17, 31, v16
	v_mul_lo_u32 v39, v28, s10
	v_cmp_gt_i32_e64 s[2:3], v38, v37
	v_cmp_lt_i32_e64 s[4:5], v3, v38
	v_mul_lo_u32 v41, s23, v3
	s_mov_b64 s[20:21], 0
	s_xor_b64 s[26:27], s[6:7], -1
	s_xor_b64 s[30:31], s[8:9], -1
	v_lshlrev_b64 v[16:17], 3, v[16:17]
	v_mov_b32_e32 v42, v30
	s_branch .LBB16_19
.LBB16_17:                              ;   in Loop: Header=BB16_19 Depth=2
	s_or_b64 exec, exec, s[34:35]
.LBB16_18:                              ;   in Loop: Header=BB16_19 Depth=2
	s_or_b64 exec, exec, s[8:9]
	v_add_u32_e32 v42, s52, v42
	v_cmp_ge_i32_e64 s[6:7], v42, v31
	s_or_b64 s[20:21], s[6:7], s[20:21]
	s_andn2_b64 exec, exec, s[20:21]
	s_cbranch_execz .LBB16_11
.LBB16_19:                              ;   Parent Loop BB16_13 Depth=1
                                        ; =>  This Loop Header: Depth=2
                                        ;       Child Loop BB16_28 Depth 3
                                        ;         Child Loop BB16_31 Depth 4
                                        ;           Child Loop BB16_34 Depth 5
                                        ;       Child Loop BB16_40 Depth 3
                                        ;       Child Loop BB16_51 Depth 3
	;; [unrolled: 1-line block ×3, first 2 shown]
	v_add_u32_e32 v18, s19, v42
	v_cmp_lt_i32_e64 s[6:7], s60, v18
	v_mov_b32_e32 v3, 0
	s_and_saveexec_b64 s[8:9], s[6:7]
	s_cbranch_execz .LBB16_21
; %bb.20:                               ;   in Loop: Header=BB16_19 Depth=2
	v_add_u32_e32 v3, s62, v18
	v_sub_u32_e32 v20, 0, v3
	v_ashrrev_i32_e32 v19, 31, v3
	v_max_i32_e32 v3, v3, v20
	v_mul_hi_u32 v20, v3, v33
	v_mul_lo_u32 v21, v20, s64
	v_sub_u32_e32 v3, v3, v21
	v_add_u32_e32 v21, 1, v20
	v_cmp_le_u32_e64 s[6:7], s64, v3
	v_cndmask_b32_e64 v20, v20, v21, s[6:7]
	v_subrev_u32_e32 v21, s64, v3
	v_cndmask_b32_e64 v3, v3, v21, s[6:7]
	v_add_u32_e32 v21, 1, v20
	v_cmp_le_u32_e64 s[6:7], s64, v3
	v_xor_b32_e32 v19, s66, v19
	v_cndmask_b32_e64 v3, v20, v21, s[6:7]
	v_xor_b32_e32 v3, v3, v19
	v_sub_u32_e32 v3, v3, v19
	v_add_u32_e32 v3, 1, v3
.LBB16_21:                              ;   in Loop: Header=BB16_19 Depth=2
	s_or_b64 exec, exec, s[8:9]
	v_sub_u32_e32 v20, 0, v18
	v_ashrrev_i32_e32 v19, 31, v18
	v_max_i32_e32 v18, v18, v20
	v_mul_hi_u32 v20, v18, v33
	v_mul_lo_u32 v21, v20, s64
	v_sub_u32_e32 v18, v18, v21
	v_add_u32_e32 v21, 1, v20
	v_cmp_le_u32_e64 s[6:7], s64, v18
	v_cndmask_b32_e64 v20, v20, v21, s[6:7]
	v_subrev_u32_e32 v21, s64, v18
	v_cndmask_b32_e64 v18, v18, v21, s[6:7]
	v_add_u32_e32 v21, 1, v20
	v_cmp_le_u32_e64 s[6:7], s64, v18
	v_xor_b32_e32 v19, s66, v19
	v_cndmask_b32_e64 v18, v20, v21, s[6:7]
	v_xor_b32_e32 v18, v18, v19
	v_sub_u32_e32 v18, v18, v19
	v_add_u32_e32 v18, 1, v18
	v_min_i32_e32 v26, s13, v18
	v_add_u32_e32 v20, 1, v3
	v_cmp_ne_u32_e64 s[6:7], v20, v26
	v_add_u32_e32 v18, v42, v39
	s_or_b64 s[6:7], s[26:27], s[6:7]
	s_and_saveexec_b64 s[8:9], s[6:7]
	s_xor_b64 s[34:35], exec, s[8:9]
	s_cbranch_execz .LBB16_53
; %bb.22:                               ;   in Loop: Header=BB16_19 Depth=2
	v_sub_u32_e32 v19, v26, v3
	v_cmp_lt_i32_e64 s[6:7], 2, v19
	s_or_b64 s[6:7], s[30:31], s[6:7]
	s_and_saveexec_b64 s[8:9], s[6:7]
	s_xor_b64 s[36:37], exec, s[8:9]
	s_cbranch_execnz .LBB16_25
; %bb.23:                               ;   in Loop: Header=BB16_19 Depth=2
	s_andn2_saveexec_b64 s[36:37], s[36:37]
	s_cbranch_execnz .LBB16_37
.LBB16_24:                              ;   in Loop: Header=BB16_19 Depth=2
	s_or_b64 exec, exec, s[36:37]
	s_and_saveexec_b64 s[8:9], s[0:1]
	s_cbranch_execnz .LBB16_50
	s_branch .LBB16_52
.LBB16_25:                              ;   in Loop: Header=BB16_19 Depth=2
	s_and_saveexec_b64 s[38:39], s[2:3]
	s_cbranch_execz .LBB16_36
; %bb.26:                               ;   in Loop: Header=BB16_19 Depth=2
	v_mad_u64_u32 v[20:21], s[8:9], s24, v3, v[12:13]
	v_cmp_gt_i32_e64 s[6:7], v26, v3
	v_ashrrev_i32_e32 v19, 31, v18
	s_mov_b64 s[40:41], 0
	v_mov_b32_e32 v21, v37
	s_branch .LBB16_28
.LBB16_27:                              ;   in Loop: Header=BB16_28 Depth=3
	s_or_b64 exec, exec, s[42:43]
	v_add_u32_e32 v21, 1, v21
	v_cmp_ge_i32_e64 s[8:9], v21, v38
	s_or_b64 s[40:41], s[8:9], s[40:41]
	v_add_u32_e32 v20, s23, v20
	s_andn2_b64 exec, exec, s[40:41]
	s_cbranch_execz .LBB16_36
.LBB16_28:                              ;   Parent Loop BB16_13 Depth=1
                                        ;     Parent Loop BB16_19 Depth=2
                                        ; =>    This Loop Header: Depth=3
                                        ;         Child Loop BB16_31 Depth 4
                                        ;           Child Loop BB16_34 Depth 5
	s_and_saveexec_b64 s[42:43], s[6:7]
	s_cbranch_execz .LBB16_27
; %bb.29:                               ;   in Loop: Header=BB16_28 Depth=3
	v_mul_lo_u32 v22, v21, s23
	v_ashrrev_i32_e32 v23, 31, v22
	v_lshlrev_b64 v[22:23], 3, v[22:23]
	v_mov_b32_e32 v24, s55
	v_add_co_u32_e64 v27, s[8:9], s54, v22
	v_addc_co_u32_e64 v43, s[8:9], v24, v23, s[8:9]
	s_mov_b64 s[44:45], 0
	v_mov_b32_e32 v44, v20
	v_mov_b32_e32 v45, v3
	s_branch .LBB16_31
.LBB16_30:                              ;   in Loop: Header=BB16_31 Depth=4
	s_or_b64 exec, exec, s[46:47]
	v_add_u32_e32 v45, 1, v45
	v_cmp_ge_i32_e64 s[8:9], v45, v26
	s_or_b64 s[44:45], s[8:9], s[44:45]
	v_add_u32_e32 v44, s24, v44
	s_andn2_b64 exec, exec, s[44:45]
	s_cbranch_execz .LBB16_27
.LBB16_31:                              ;   Parent Loop BB16_13 Depth=1
                                        ;     Parent Loop BB16_19 Depth=2
                                        ;       Parent Loop BB16_28 Depth=3
                                        ; =>      This Loop Header: Depth=4
                                        ;           Child Loop BB16_34 Depth 5
	s_and_saveexec_b64 s[46:47], s[0:1]
	s_cbranch_execz .LBB16_30
; %bb.32:                               ;   in Loop: Header=BB16_31 Depth=4
	v_mul_lo_u32 v22, v45, s24
	v_ashrrev_i32_e32 v23, 31, v22
	v_lshlrev_b64 v[22:23], 3, v[22:23]
	v_add_co_u32_e64 v46, s[8:9], v27, v22
	v_addc_co_u32_e64 v47, s[8:9], v43, v23, s[8:9]
	s_mov_b64 s[48:49], 0
	v_mov_b32_e32 v48, v36
	v_mov_b32_e32 v22, v35
	;; [unrolled: 1-line block ×3, first 2 shown]
	s_branch .LBB16_34
.LBB16_33:                              ;   in Loop: Header=BB16_34 Depth=5
	s_or_b64 exec, exec, s[50:51]
	v_ashrrev_i32_e32 v23, 31, v22
	v_cmp_le_i64_e64 s[8:9], s[28:29], v[22:23]
	v_add_u32_e32 v24, s22, v24
	v_add_u32_e32 v22, s63, v22
	s_or_b64 s[48:49], s[8:9], s[48:49]
	v_add_u32_e32 v48, s25, v48
	s_andn2_b64 exec, exec, s[48:49]
	s_cbranch_execz .LBB16_30
.LBB16_34:                              ;   Parent Loop BB16_13 Depth=1
                                        ;     Parent Loop BB16_19 Depth=2
                                        ;       Parent Loop BB16_28 Depth=3
                                        ;         Parent Loop BB16_31 Depth=4
                                        ; =>        This Inner Loop Header: Depth=5
	v_ashrrev_i32_e32 v25, 31, v24
	v_lshlrev_b64 v[50:51], 3, v[24:25]
	v_add_co_u32_e64 v50, s[8:9], v46, v50
	v_addc_co_u32_e64 v51, s[8:9], v47, v51, s[8:9]
	global_load_dwordx2 v[50:51], v[50:51], off
	s_waitcnt vmcnt(0)
	v_cmp_eq_u64_e64 s[8:9], v[50:51], v[18:19]
	s_and_saveexec_b64 s[50:51], s[8:9]
	s_cbranch_execz .LBB16_33
; %bb.35:                               ;   in Loop: Header=BB16_34 Depth=5
	v_add_u32_e32 v50, v44, v24
	v_ashrrev_i32_e32 v51, 31, v50
	v_lshlrev_b64 v[50:51], 3, v[50:51]
	v_mov_b32_e32 v23, s57
	v_add_co_u32_e64 v50, s[8:9], s56, v50
	v_addc_co_u32_e64 v51, s[8:9], v23, v51, s[8:9]
	global_load_dwordx2 v[50:51], v[50:51], off
	ds_read_b64 v[52:53], v48
	s_waitcnt vmcnt(0) lgkmcnt(0)
	v_add_f64 v[50:51], v[50:51], v[52:53]
	ds_write_b64 v48, v[50:51]
	s_branch .LBB16_33
.LBB16_36:                              ;   in Loop: Header=BB16_19 Depth=2
	s_or_b64 exec, exec, s[38:39]
                                        ; implicit-def: $vgpr26
                                        ; implicit-def: $vgpr3
                                        ; implicit-def: $vgpr20
	s_andn2_saveexec_b64 s[36:37], s[36:37]
	s_cbranch_execz .LBB16_24
.LBB16_37:                              ;   in Loop: Header=BB16_19 Depth=2
	s_and_saveexec_b64 s[38:39], s[0:1]
	s_cbranch_execz .LBB16_49
; %bb.38:                               ;   in Loop: Header=BB16_19 Depth=2
	v_mul_lo_u32 v22, v3, s24
	v_add_u32_e32 v24, s24, v22
	v_cmp_gt_i32_e64 s[6:7], v26, v3
	v_ashrrev_i32_e32 v23, 31, v22
	v_cmp_lt_i32_e64 s[8:9], v20, v26
	v_ashrrev_i32_e32 v25, 31, v24
	v_not_b32_e32 v19, v18
	s_and_b64 s[40:41], s[2:3], s[6:7]
	s_and_b64 s[42:43], s[2:3], s[8:9]
	;; [unrolled: 1-line block ×4, first 2 shown]
	v_add_u32_e32 v3, v41, v24
	v_add_u32_e32 v43, v41, v22
	v_add_u32_e32 v44, v12, v24
	v_add_u32_e32 v45, v12, v22
	s_mov_b64 s[46:47], 0
	v_lshlrev_b64 v[20:21], 3, v[22:23]
	v_lshlrev_b64 v[22:23], 3, v[24:25]
	v_mov_b32_e32 v46, v36
	v_mov_b32_e32 v24, v35
	;; [unrolled: 1-line block ×3, first 2 shown]
	s_branch .LBB16_40
.LBB16_39:                              ;   in Loop: Header=BB16_40 Depth=3
	s_or_b64 exec, exec, s[48:49]
	s_waitcnt vmcnt(0)
	v_add_f64 v[50:51], v[10:11], 0
	v_cmp_eq_u32_e64 s[6:7], v25, v18
	v_cndmask_b32_e64 v51, 0, v51, s[6:7]
	v_cndmask_b32_e64 v50, 0, v50, s[6:7]
	v_add_f64 v[52:53], v[50:51], v[8:9]
	v_cmp_eq_u32_e64 s[6:7], v27, v18
	v_cndmask_b32_e64 v51, v51, v53, s[6:7]
	v_cndmask_b32_e64 v50, v50, v52, s[6:7]
	;; [unrolled: 4-line block ×3, first 2 shown]
	ds_read_b64 v[52:53], v46
	v_add_f64 v[54:55], v[50:51], v[4:5]
	v_cmp_eq_u32_e64 s[6:7], v48, v18
	v_cndmask_b32_e64 v49, v51, v55, s[6:7]
	v_cndmask_b32_e64 v48, v50, v54, s[6:7]
	v_ashrrev_i32_e32 v25, 31, v24
	s_waitcnt lgkmcnt(0)
	v_add_f64 v[48:49], v[48:49], v[52:53]
	v_cmp_le_i64_e64 s[6:7], s[28:29], v[24:25]
	ds_write_b64 v46, v[48:49]
	v_add_u32_e32 v26, s22, v26
	v_add_u32_e32 v24, s63, v24
	s_or_b64 s[46:47], s[6:7], s[46:47]
	v_add_u32_e32 v46, s25, v46
	s_andn2_b64 exec, exec, s[46:47]
	s_cbranch_execz .LBB16_48
.LBB16_40:                              ;   Parent Loop BB16_13 Depth=1
                                        ;     Parent Loop BB16_19 Depth=2
                                        ; =>    This Inner Loop Header: Depth=3
	v_ashrrev_i32_e32 v27, 31, v26
	v_lshlrev_b64 v[48:49], 3, v[26:27]
	v_mov_b32_e32 v25, s55
	v_add_co_u32_e64 v47, s[6:7], s54, v48
	v_addc_co_u32_e64 v48, s[6:7], v25, v49, s[6:7]
	v_add_co_u32_e64 v49, s[6:7], v47, v14
	v_addc_co_u32_e64 v50, s[6:7], v48, v15, s[6:7]
	v_mov_b32_e32 v25, v19
	s_and_saveexec_b64 s[48:49], s[40:41]
	s_cbranch_execz .LBB16_42
; %bb.41:                               ;   in Loop: Header=BB16_40 Depth=3
	v_add_co_u32_e64 v10, s[6:7], v49, v20
	v_addc_co_u32_e64 v11, s[6:7], v50, v21, s[6:7]
	global_load_dword v25, v[10:11], off
	v_add_u32_e32 v10, v45, v26
	v_ashrrev_i32_e32 v11, 31, v10
	v_lshlrev_b64 v[10:11], 3, v[10:11]
	v_mov_b32_e32 v27, s57
	v_add_co_u32_e64 v10, s[6:7], s56, v10
	v_addc_co_u32_e64 v11, s[6:7], v27, v11, s[6:7]
	global_load_dwordx2 v[10:11], v[10:11], off
.LBB16_42:                              ;   in Loop: Header=BB16_40 Depth=3
	s_or_b64 exec, exec, s[48:49]
	v_mov_b32_e32 v27, v19
	s_and_saveexec_b64 s[48:49], s[42:43]
	s_cbranch_execz .LBB16_44
; %bb.43:                               ;   in Loop: Header=BB16_40 Depth=3
	v_add_co_u32_e64 v8, s[6:7], v49, v22
	v_addc_co_u32_e64 v9, s[6:7], v50, v23, s[6:7]
	global_load_dword v27, v[8:9], off
	v_add_u32_e32 v8, v44, v26
	v_ashrrev_i32_e32 v9, 31, v8
	v_lshlrev_b64 v[8:9], 3, v[8:9]
	v_mov_b32_e32 v49, s57
	v_add_co_u32_e64 v8, s[6:7], s56, v8
	v_addc_co_u32_e64 v9, s[6:7], v49, v9, s[6:7]
	global_load_dwordx2 v[8:9], v[8:9], off
.LBB16_44:                              ;   in Loop: Header=BB16_40 Depth=3
	s_or_b64 exec, exec, s[48:49]
	v_add_co_u32_e64 v49, s[6:7], v47, v16
	v_addc_co_u32_e64 v50, s[6:7], v48, v17, s[6:7]
	v_mov_b32_e32 v47, v19
	s_and_saveexec_b64 s[48:49], s[44:45]
	s_cbranch_execz .LBB16_46
; %bb.45:                               ;   in Loop: Header=BB16_40 Depth=3
	v_add_co_u32_e64 v6, s[6:7], v49, v20
	v_addc_co_u32_e64 v7, s[6:7], v50, v21, s[6:7]
	global_load_dword v47, v[6:7], off
	v_add_u32_e32 v6, v43, v26
	v_ashrrev_i32_e32 v7, 31, v6
	v_lshlrev_b64 v[6:7], 3, v[6:7]
	v_mov_b32_e32 v48, s57
	v_add_co_u32_e64 v6, s[6:7], s56, v6
	v_addc_co_u32_e64 v7, s[6:7], v48, v7, s[6:7]
	global_load_dwordx2 v[6:7], v[6:7], off
.LBB16_46:                              ;   in Loop: Header=BB16_40 Depth=3
	s_or_b64 exec, exec, s[48:49]
	v_mov_b32_e32 v48, v19
	s_and_saveexec_b64 s[48:49], s[8:9]
	s_cbranch_execz .LBB16_39
; %bb.47:                               ;   in Loop: Header=BB16_40 Depth=3
	v_add_co_u32_e64 v4, s[6:7], v49, v22
	v_addc_co_u32_e64 v5, s[6:7], v50, v23, s[6:7]
	global_load_dword v48, v[4:5], off
	v_add_u32_e32 v4, v3, v26
	v_ashrrev_i32_e32 v5, 31, v4
	v_lshlrev_b64 v[4:5], 3, v[4:5]
	v_mov_b32_e32 v49, s57
	v_add_co_u32_e64 v4, s[6:7], s56, v4
	v_addc_co_u32_e64 v5, s[6:7], v49, v5, s[6:7]
	global_load_dwordx2 v[4:5], v[4:5], off
	s_branch .LBB16_39
.LBB16_48:                              ;   in Loop: Header=BB16_19 Depth=2
	s_or_b64 exec, exec, s[46:47]
.LBB16_49:                              ;   in Loop: Header=BB16_19 Depth=2
	s_or_b64 exec, exec, s[38:39]
	s_or_b64 exec, exec, s[36:37]
	s_and_saveexec_b64 s[8:9], s[0:1]
	s_cbranch_execz .LBB16_52
.LBB16_50:                              ;   in Loop: Header=BB16_19 Depth=2
	v_ashrrev_i32_e32 v3, 31, v18
	v_mul_lo_u32 v20, v18, s29
	v_mul_lo_u32 v3, v3, s28
	v_mad_u64_u32 v[18:19], s[6:7], v18, s28, 0
	v_add3_u32 v19, v19, v20, v3
	v_lshlrev_b64 v[18:19], 3, v[18:19]
	v_mov_b32_e32 v3, s53
	v_add_co_u32_e64 v22, s[6:7], s11, v18
	v_addc_co_u32_e64 v23, s[6:7], v3, v19, s[6:7]
	s_mov_b64 s[36:37], 0
	v_mov_b32_e32 v24, v36
	v_mov_b32_e32 v18, v35
	v_pk_mov_b32 v[20:21], v[0:1], v[0:1] op_sel:[0,1]
.LBB16_51:                              ;   Parent Loop BB16_13 Depth=1
                                        ;     Parent Loop BB16_19 Depth=2
                                        ; =>    This Inner Loop Header: Depth=3
	ds_read_b64 v[26:27], v24
	v_lshlrev_b64 v[20:21], 3, v[20:21]
	v_add_co_u32_e64 v44, s[6:7], v22, v20
	v_ashrrev_i32_e32 v19, 31, v18
	v_addc_co_u32_e64 v45, s[6:7], v23, v21, s[6:7]
	v_mov_b32_e32 v3, v2
	v_cmp_le_i64_e64 s[6:7], s[28:29], v[18:19]
	ds_write_b64 v24, v[2:3]
	v_pk_mov_b32 v[20:21], v[18:19], v[18:19] op_sel:[0,1]
	v_add_u32_e32 v18, s63, v18
	v_add_u32_e32 v24, s25, v24
	s_or_b64 s[36:37], s[6:7], s[36:37]
	s_waitcnt lgkmcnt(1)
	global_store_dwordx2 v[44:45], v[26:27], off
	s_andn2_b64 exec, exec, s[36:37]
	s_cbranch_execnz .LBB16_51
.LBB16_52:                              ;   in Loop: Header=BB16_19 Depth=2
	s_or_b64 exec, exec, s[8:9]
                                        ; implicit-def: $vgpr3
                                        ; implicit-def: $vgpr18
.LBB16_53:                              ;   in Loop: Header=BB16_19 Depth=2
	s_andn2_saveexec_b64 s[8:9], s[34:35]
	s_cbranch_execz .LBB16_18
; %bb.54:                               ;   in Loop: Header=BB16_19 Depth=2
	s_and_saveexec_b64 s[34:35], s[0:1]
	s_cbranch_execz .LBB16_17
; %bb.55:                               ;   in Loop: Header=BB16_19 Depth=2
	v_mul_lo_u32 v20, v3, s24
	v_ashrrev_i32_e32 v21, 31, v20
	v_lshlrev_b64 v[22:23], 3, v[20:21]
	v_add_co_u32_e64 v3, s[6:7], v13, v22
	v_ashrrev_i32_e32 v19, 31, v18
	v_addc_co_u32_e64 v26, s[6:7], v40, v23, s[6:7]
	v_mul_lo_u32 v21, v18, s29
	v_mul_lo_u32 v24, v19, s28
	v_mad_u64_u32 v[22:23], s[6:7], v18, s28, 0
	v_add3_u32 v23, v23, v21, v24
	v_lshlrev_b64 v[22:23], 3, v[22:23]
	v_mov_b32_e32 v21, s53
	v_add_co_u32_e64 v27, s[6:7], s11, v22
	v_addc_co_u32_e64 v43, s[6:7], v21, v23, s[6:7]
	v_add_u32_e32 v44, v20, v12
	s_mov_b64 s[36:37], 0
	v_mov_b32_e32 v20, v35
	v_mov_b32_e32 v22, v34
	v_pk_mov_b32 v[24:25], v[0:1], v[0:1] op_sel:[0,1]
	s_branch .LBB16_57
.LBB16_56:                              ;   in Loop: Header=BB16_57 Depth=3
	s_or_b64 exec, exec, s[38:39]
	v_ashrrev_i32_e32 v21, 31, v20
	v_cmp_le_i64_e64 s[6:7], s[28:29], v[20:21]
	v_pk_mov_b32 v[24:25], v[20:21], v[20:21] op_sel:[0,1]
	v_add_u32_e32 v22, s22, v22
	s_or_b64 s[36:37], s[6:7], s[36:37]
	v_add_u32_e32 v20, s63, v20
	s_andn2_b64 exec, exec, s[36:37]
	s_cbranch_execz .LBB16_17
.LBB16_57:                              ;   Parent Loop BB16_13 Depth=1
                                        ;     Parent Loop BB16_19 Depth=2
                                        ; =>    This Inner Loop Header: Depth=3
	v_ashrrev_i32_e32 v23, 31, v22
	v_lshlrev_b64 v[46:47], 3, v[22:23]
	v_add_co_u32_e64 v46, s[6:7], v3, v46
	v_addc_co_u32_e64 v47, s[6:7], v26, v47, s[6:7]
	global_load_dwordx2 v[46:47], v[46:47], off
	s_waitcnt vmcnt(0)
	v_cmp_eq_u64_e64 s[6:7], v[46:47], v[18:19]
	s_and_saveexec_b64 s[38:39], s[6:7]
	s_cbranch_execz .LBB16_56
; %bb.58:                               ;   in Loop: Header=BB16_57 Depth=3
	v_add_u32_e32 v46, v44, v22
	v_ashrrev_i32_e32 v47, 31, v46
	v_lshlrev_b64 v[46:47], 3, v[46:47]
	v_mov_b32_e32 v21, s57
	v_add_co_u32_e64 v46, s[6:7], s56, v46
	v_addc_co_u32_e64 v47, s[6:7], v21, v47, s[6:7]
	global_load_dwordx2 v[46:47], v[46:47], off
	v_lshlrev_b64 v[24:25], 3, v[24:25]
	v_add_co_u32_e64 v24, s[6:7], v27, v24
	v_addc_co_u32_e64 v25, s[6:7], v43, v25, s[6:7]
	s_waitcnt vmcnt(0)
	global_store_dwordx2 v[24:25], v[46:47], off
	s_branch .LBB16_56
.LBB16_59:
	s_endpgm
.LBB16_60:
                                        ; implicit-def: $sgpr2_sgpr3
	s_andn2_b64 vcc, exec, s[34:35]
	s_cbranch_vccz .LBB16_5
	s_branch .LBB16_6
.LBB16_61:
                                        ; implicit-def: $sgpr36_sgpr37
	s_andn2_b64 vcc, exec, s[34:35]
	s_cbranch_vccz .LBB16_8
	s_branch .LBB16_9
	.section	.rodata,"a",@progbits
	.p2align	6, 0x0
	.amdhsa_kernel _ZN2at6native12_GLOBAL__N_122max_pool_backward_nhwcIddEEvPKT_PKlillliiiiiiiiiiiiiiiPS3_
		.amdhsa_group_segment_fixed_size 0
		.amdhsa_private_segment_fixed_size 0
		.amdhsa_kernarg_size 376
		.amdhsa_user_sgpr_count 6
		.amdhsa_user_sgpr_private_segment_buffer 1
		.amdhsa_user_sgpr_dispatch_ptr 0
		.amdhsa_user_sgpr_queue_ptr 0
		.amdhsa_user_sgpr_kernarg_segment_ptr 1
		.amdhsa_user_sgpr_dispatch_id 0
		.amdhsa_user_sgpr_flat_scratch_init 0
		.amdhsa_user_sgpr_kernarg_preload_length 0
		.amdhsa_user_sgpr_kernarg_preload_offset 0
		.amdhsa_user_sgpr_private_segment_size 0
		.amdhsa_uses_dynamic_stack 0
		.amdhsa_system_sgpr_private_segment_wavefront_offset 0
		.amdhsa_system_sgpr_workgroup_id_x 1
		.amdhsa_system_sgpr_workgroup_id_y 1
		.amdhsa_system_sgpr_workgroup_id_z 1
		.amdhsa_system_sgpr_workgroup_info 0
		.amdhsa_system_vgpr_workitem_id 2
		.amdhsa_next_free_vgpr 56
		.amdhsa_next_free_sgpr 67
		.amdhsa_accum_offset 56
		.amdhsa_reserve_vcc 1
		.amdhsa_reserve_flat_scratch 0
		.amdhsa_float_round_mode_32 0
		.amdhsa_float_round_mode_16_64 0
		.amdhsa_float_denorm_mode_32 3
		.amdhsa_float_denorm_mode_16_64 3
		.amdhsa_dx10_clamp 1
		.amdhsa_ieee_mode 1
		.amdhsa_fp16_overflow 0
		.amdhsa_tg_split 0
		.amdhsa_exception_fp_ieee_invalid_op 0
		.amdhsa_exception_fp_denorm_src 0
		.amdhsa_exception_fp_ieee_div_zero 0
		.amdhsa_exception_fp_ieee_overflow 0
		.amdhsa_exception_fp_ieee_underflow 0
		.amdhsa_exception_fp_ieee_inexact 0
		.amdhsa_exception_int_div_zero 0
	.end_amdhsa_kernel
	.section	.text._ZN2at6native12_GLOBAL__N_122max_pool_backward_nhwcIddEEvPKT_PKlillliiiiiiiiiiiiiiiPS3_,"axG",@progbits,_ZN2at6native12_GLOBAL__N_122max_pool_backward_nhwcIddEEvPKT_PKlillliiiiiiiiiiiiiiiPS3_,comdat
.Lfunc_end16:
	.size	_ZN2at6native12_GLOBAL__N_122max_pool_backward_nhwcIddEEvPKT_PKlillliiiiiiiiiiiiiiiPS3_, .Lfunc_end16-_ZN2at6native12_GLOBAL__N_122max_pool_backward_nhwcIddEEvPKT_PKlillliiiiiiiiiiiiiiiPS3_
                                        ; -- End function
	.section	.AMDGPU.csdata,"",@progbits
; Kernel info:
; codeLenInByte = 4464
; NumSgprs: 71
; NumVgprs: 56
; NumAgprs: 0
; TotalNumVgprs: 56
; ScratchSize: 0
; MemoryBound: 0
; FloatMode: 240
; IeeeMode: 1
; LDSByteSize: 0 bytes/workgroup (compile time only)
; SGPRBlocks: 8
; VGPRBlocks: 6
; NumSGPRsForWavesPerEU: 71
; NumVGPRsForWavesPerEU: 56
; AccumOffset: 56
; Occupancy: 8
; WaveLimiterHint : 0
; COMPUTE_PGM_RSRC2:SCRATCH_EN: 0
; COMPUTE_PGM_RSRC2:USER_SGPR: 6
; COMPUTE_PGM_RSRC2:TRAP_HANDLER: 0
; COMPUTE_PGM_RSRC2:TGID_X_EN: 1
; COMPUTE_PGM_RSRC2:TGID_Y_EN: 1
; COMPUTE_PGM_RSRC2:TGID_Z_EN: 1
; COMPUTE_PGM_RSRC2:TIDIG_COMP_CNT: 2
; COMPUTE_PGM_RSRC3_GFX90A:ACCUM_OFFSET: 13
; COMPUTE_PGM_RSRC3_GFX90A:TG_SPLIT: 0
	.section	.text._ZN2at6native12_GLOBAL__N_122max_pool_backward_nchwIddiEEvPKT_PKlT1_S8_S8_S8_S8_S8_iiiiiiiiPS3_,"axG",@progbits,_ZN2at6native12_GLOBAL__N_122max_pool_backward_nchwIddiEEvPKT_PKlT1_S8_S8_S8_S8_S8_iiiiiiiiPS3_,comdat
	.globl	_ZN2at6native12_GLOBAL__N_122max_pool_backward_nchwIddiEEvPKT_PKlT1_S8_S8_S8_S8_S8_iiiiiiiiPS3_ ; -- Begin function _ZN2at6native12_GLOBAL__N_122max_pool_backward_nchwIddiEEvPKT_PKlT1_S8_S8_S8_S8_S8_iiiiiiiiPS3_
	.p2align	8
	.type	_ZN2at6native12_GLOBAL__N_122max_pool_backward_nchwIddiEEvPKT_PKlT1_S8_S8_S8_S8_S8_iiiiiiiiPS3_,@function
_ZN2at6native12_GLOBAL__N_122max_pool_backward_nchwIddiEEvPKT_PKlT1_S8_S8_S8_S8_S8_iiiiiiiiPS3_: ; @_ZN2at6native12_GLOBAL__N_122max_pool_backward_nchwIddiEEvPKT_PKlT1_S8_S8_S8_S8_S8_iiiiiiiiPS3_
; %bb.0:
	s_load_dword s0, s[4:5], 0x5c
	s_load_dwordx8 s[12:19], s[4:5], 0x10
	s_add_u32 s10, s4, 0x50
	s_addc_u32 s11, s5, 0
	v_mov_b32_e32 v1, 0
	s_waitcnt lgkmcnt(0)
	s_and_b32 s0, s0, 0xffff
	v_mov_b32_e32 v2, s6
	s_mul_i32 s28, s15, s14
	v_mad_u64_u32 v[0:1], s[2:3], s0, v2, v[0:1]
	s_ashr_i32 s29, s28, 31
	v_cmp_gt_i64_e32 vcc, s[28:29], v[0:1]
	s_and_saveexec_b64 s[2:3], vcc
	s_cbranch_execz .LBB17_23
; %bb.1:
	s_load_dwordx8 s[20:27], s[4:5], 0x30
	s_load_dword s1, s[10:11], 0x0
	s_add_i32 s6, s18, -1
	s_add_i32 s9, s19, -1
	s_mul_i32 s53, s17, s16
	s_waitcnt lgkmcnt(0)
	s_mul_i32 s6, s6, s24
	s_mul_i32 s9, s9, s25
	s_not_b32 s14, s6
	s_not_b32 s33, s9
	s_cmp_lt_i32 s7, s12
	s_cselect_b64 s[2:3], -1, 0
	s_cmp_lt_i32 s8, s13
	s_cselect_b64 s[18:19], -1, 0
	s_abs_i32 s44, s15
	v_cvt_f32_u32_e32 v2, s44
	s_abs_i32 s48, s20
	v_cvt_f32_u32_e32 v3, s48
	s_mul_i32 s45, s1, s0
	v_rcp_iflag_f32_e32 v2, v2
	s_sub_i32 s0, 0, s44
	s_abs_i32 s49, s21
	v_rcp_iflag_f32_e32 v5, v3
	v_mul_f32_e32 v2, 0x4f7ffffe, v2
	v_cvt_u32_f32_e32 v2, v2
	s_load_dwordx4 s[24:27], s[4:5], 0x0
	s_load_dwordx2 s[30:31], s[4:5], 0x48
	s_mov_b32 s46, 0
	s_ashr_i32 s47, s15, 31
	v_mul_lo_u32 v4, s0, v2
	v_mul_hi_u32 v4, v2, v4
	v_add_u32_e32 v3, v2, v4
	v_cvt_f32_u32_e32 v2, s49
	v_mul_f32_e32 v4, 0x4f7ffffe, v5
	v_cvt_u32_f32_e32 v4, v4
	s_sub_i32 s0, 0, s48
	v_rcp_iflag_f32_e32 v2, v2
	s_ashr_i32 s50, s20, 31
	v_mul_lo_u32 v5, s0, v4
	v_mul_hi_u32 v5, v4, v5
	v_mul_f32_e32 v2, 0x4f7ffffe, v2
	v_cvt_u32_f32_e32 v2, v2
	s_sub_i32 s0, 0, s49
	v_add_u32_e32 v14, v4, v5
	s_ashr_i32 s51, s21, 31
	v_mul_lo_u32 v4, s0, v2
	v_mul_hi_u32 v4, v2, v4
	s_mul_i32 s0, s7, s13
	v_add_u32_e32 v15, v2, v4
	s_add_i32 s0, s8, s0
	v_cndmask_b32_e64 v2, 0, 1, s[2:3]
	s_mul_i32 s52, s16, s0
	s_mul_i32 s54, s53, s13
	s_mov_b64 s[20:21], 0
	v_cmp_ne_u32_e64 s[0:1], 1, v2
	s_branch .LBB17_3
.LBB17_2:                               ;   in Loop: Header=BB17_3 Depth=1
	v_mov_b32_e32 v2, s46
	v_add_co_u32_e32 v0, vcc, s45, v0
	v_addc_co_u32_e32 v1, vcc, v1, v2, vcc
	v_cmp_le_i64_e32 vcc, s[28:29], v[0:1]
	s_or_b64 s[20:21], vcc, s[20:21]
	s_andn2_b64 exec, exec, s[20:21]
	s_cbranch_execz .LBB17_23
.LBB17_3:                               ; =>This Loop Header: Depth=1
                                        ;     Child Loop BB17_10 Depth 2
                                        ;       Child Loop BB17_14 Depth 3
                                        ;         Child Loop BB17_18 Depth 4
                                        ;           Child Loop BB17_21 Depth 5
	v_sub_u32_e32 v4, 0, v0
	v_max_i32_e32 v4, v0, v4
	v_mul_hi_u32 v5, v4, v3
	v_mul_lo_u32 v6, v5, s44
	v_sub_u32_e32 v4, v4, v6
	v_add_u32_e32 v6, 1, v5
	v_cmp_le_u32_e32 vcc, s44, v4
	v_cndmask_b32_e32 v5, v5, v6, vcc
	v_subrev_u32_e32 v6, s44, v4
	v_cndmask_b32_e32 v4, v4, v6, vcc
	v_ashrrev_i32_e32 v2, 31, v0
	v_add_u32_e32 v6, 1, v5
	v_cmp_le_u32_e32 vcc, s44, v4
	v_xor_b32_e32 v2, s47, v2
	v_cndmask_b32_e32 v4, v5, v6, vcc
	v_xor_b32_e32 v4, v4, v2
	v_sub_u32_e32 v5, v4, v2
	v_add_u32_e32 v4, s22, v5
	v_cmp_lt_i32_e32 vcc, s6, v4
	v_mov_b32_e32 v2, 0
	v_mov_b32_e32 v16, 0
	s_and_saveexec_b64 s[2:3], vcc
	s_cbranch_execz .LBB17_5
; %bb.4:                                ;   in Loop: Header=BB17_3 Depth=1
	v_add_u32_e32 v6, s14, v4
	v_sub_u32_e32 v8, 0, v6
	v_ashrrev_i32_e32 v7, 31, v6
	v_max_i32_e32 v6, v6, v8
	v_mul_hi_u32 v8, v6, v14
	v_mul_lo_u32 v9, v8, s48
	v_sub_u32_e32 v6, v6, v9
	v_add_u32_e32 v9, 1, v8
	v_cmp_le_u32_e32 vcc, s48, v6
	v_cndmask_b32_e32 v8, v8, v9, vcc
	v_subrev_u32_e32 v9, s48, v6
	v_cndmask_b32_e32 v6, v6, v9, vcc
	v_add_u32_e32 v9, 1, v8
	v_cmp_le_u32_e32 vcc, s48, v6
	v_xor_b32_e32 v7, s50, v7
	v_cndmask_b32_e32 v6, v8, v9, vcc
	v_xor_b32_e32 v6, v6, v7
	v_sub_u32_e32 v6, v6, v7
	v_add_u32_e32 v16, 1, v6
.LBB17_5:                               ;   in Loop: Header=BB17_3 Depth=1
	s_or_b64 exec, exec, s[2:3]
	v_mul_lo_u32 v5, v5, s15
	v_sub_u32_e32 v5, v0, v5
	v_add_u32_e32 v5, s23, v5
	v_cmp_lt_i32_e32 vcc, s9, v5
	s_and_saveexec_b64 s[2:3], vcc
	s_cbranch_execz .LBB17_7
; %bb.6:                                ;   in Loop: Header=BB17_3 Depth=1
	v_add_u32_e32 v2, s33, v5
	v_sub_u32_e32 v7, 0, v2
	v_ashrrev_i32_e32 v6, 31, v2
	v_max_i32_e32 v2, v2, v7
	v_mul_hi_u32 v7, v2, v15
	v_mul_lo_u32 v8, v7, s49
	v_sub_u32_e32 v2, v2, v8
	v_add_u32_e32 v8, 1, v7
	v_cmp_le_u32_e32 vcc, s49, v2
	v_cndmask_b32_e32 v7, v7, v8, vcc
	v_subrev_u32_e32 v8, s49, v2
	v_cndmask_b32_e32 v2, v2, v8, vcc
	v_add_u32_e32 v8, 1, v7
	v_cmp_le_u32_e32 vcc, s49, v2
	v_xor_b32_e32 v6, s51, v6
	v_cndmask_b32_e32 v2, v7, v8, vcc
	v_xor_b32_e32 v2, v2, v6
	v_sub_u32_e32 v2, v2, v6
	v_add_u32_e32 v2, 1, v2
.LBB17_7:                               ;   in Loop: Header=BB17_3 Depth=1
	s_or_b64 exec, exec, s[2:3]
	s_and_b64 vcc, exec, s[0:1]
	s_cbranch_vccnz .LBB17_2
; %bb.8:                                ;   in Loop: Header=BB17_3 Depth=1
	v_sub_u32_e32 v7, 0, v5
	v_ashrrev_i32_e32 v6, 31, v5
	v_max_i32_e32 v5, v5, v7
	v_mul_hi_u32 v7, v5, v15
	v_mul_lo_u32 v8, v7, s49
	v_sub_u32_e32 v5, v5, v8
	v_add_u32_e32 v8, 1, v7
	v_cmp_le_u32_e32 vcc, s49, v5
	v_cndmask_b32_e32 v7, v7, v8, vcc
	v_subrev_u32_e32 v8, s49, v5
	v_cndmask_b32_e32 v5, v5, v8, vcc
	v_add_u32_e32 v8, 1, v7
	v_cmp_le_u32_e32 vcc, s49, v5
	v_xor_b32_e32 v6, s51, v6
	v_cndmask_b32_e32 v5, v7, v8, vcc
	v_xor_b32_e32 v5, v5, v6
	v_sub_u32_e32 v5, v5, v6
	v_add_u32_e32 v5, 1, v5
	v_sub_u32_e32 v6, 0, v4
	v_min_i32_e32 v17, s17, v5
	v_ashrrev_i32_e32 v5, 31, v4
	v_max_i32_e32 v4, v4, v6
	v_mul_hi_u32 v6, v4, v14
	v_mul_lo_u32 v7, v6, s48
	v_sub_u32_e32 v4, v4, v7
	v_add_u32_e32 v7, 1, v6
	v_cmp_le_u32_e32 vcc, s48, v4
	v_cndmask_b32_e32 v6, v6, v7, vcc
	v_subrev_u32_e32 v7, s48, v4
	v_cndmask_b32_e32 v4, v4, v7, vcc
	v_add_u32_e32 v7, 1, v6
	v_cmp_le_u32_e32 vcc, s48, v4
	v_xor_b32_e32 v5, s50, v5
	v_cndmask_b32_e32 v4, v6, v7, vcc
	s_load_dword s55, s[10:11], 0x4
	v_xor_b32_e32 v4, v4, v5
	v_sub_u32_e32 v4, v4, v5
	v_add_u32_e32 v4, 1, v4
	v_min_i32_e32 v18, s16, v4
	v_add_u32_e32 v6, s52, v16
	v_cmp_lt_i32_e64 s[2:3], v16, v18
	v_cmp_lt_i32_e64 s[4:5], v2, v17
	v_ashrrev_i32_e32 v5, 31, v0
	v_mov_b32_e32 v4, v0
	v_mad_u64_u32 v[6:7], s[34:35], s17, v6, v[2:3]
	s_waitcnt lgkmcnt(0)
	s_mul_i32 s56, s54, s55
	s_mov_b32 s57, s7
	s_branch .LBB17_10
.LBB17_9:                               ;   in Loop: Header=BB17_10 Depth=2
	s_add_i32 s57, s55, s57
	s_cmp_ge_i32 s57, s12
	v_add_u32_e32 v6, s56, v6
	s_cbranch_scc1 .LBB17_2
.LBB17_10:                              ;   Parent Loop BB17_3 Depth=1
                                        ; =>  This Loop Header: Depth=2
                                        ;       Child Loop BB17_14 Depth 3
                                        ;         Child Loop BB17_18 Depth 4
                                        ;           Child Loop BB17_21 Depth 5
	s_andn2_b64 vcc, exec, s[18:19]
	s_cbranch_vccnz .LBB17_9
; %bb.11:                               ;   in Loop: Header=BB17_10 Depth=2
	s_load_dword s58, s[10:11], 0x8
	s_mul_i32 s59, s57, s13
	v_mov_b32_e32 v7, v6
	s_mov_b32 s61, s8
	s_waitcnt lgkmcnt(0)
	s_mul_i32 s60, s53, s58
	s_branch .LBB17_14
.LBB17_12:                              ;   in Loop: Header=BB17_14 Depth=3
	s_or_b64 exec, exec, s[36:37]
.LBB17_13:                              ;   in Loop: Header=BB17_14 Depth=3
	s_or_b64 exec, exec, s[34:35]
	s_add_i32 s34, s61, s59
	s_mul_i32 s34, s28, s34
	v_add_u32_e32 v10, s34, v0
	v_ashrrev_i32_e32 v11, 31, v10
	v_lshlrev_b64 v[10:11], 3, v[10:11]
	v_mov_b32_e32 v12, s31
	v_add_co_u32_e32 v10, vcc, s30, v10
	s_add_i32 s61, s58, s61
	v_addc_co_u32_e32 v11, vcc, v12, v11, vcc
	s_cmp_ge_i32 s61, s13
	v_add_u32_e32 v7, s60, v7
	global_store_dwordx2 v[10:11], v[8:9], off
	s_cbranch_scc1 .LBB17_9
.LBB17_14:                              ;   Parent Loop BB17_3 Depth=1
                                        ;     Parent Loop BB17_10 Depth=2
                                        ; =>    This Loop Header: Depth=3
                                        ;         Child Loop BB17_18 Depth 4
                                        ;           Child Loop BB17_21 Depth 5
	v_pk_mov_b32 v[8:9], 0, 0
	s_and_saveexec_b64 s[34:35], s[2:3]
	s_cbranch_execz .LBB17_13
; %bb.15:                               ;   in Loop: Header=BB17_14 Depth=3
	s_mov_b64 s[36:37], 0
	v_pk_mov_b32 v[8:9], 0, 0
	v_mov_b32_e32 v19, v7
	v_mov_b32_e32 v20, v16
	s_branch .LBB17_18
.LBB17_16:                              ;   in Loop: Header=BB17_18 Depth=4
	s_or_b64 exec, exec, s[40:41]
.LBB17_17:                              ;   in Loop: Header=BB17_18 Depth=4
	s_or_b64 exec, exec, s[38:39]
	v_add_u32_e32 v20, 1, v20
	v_cmp_ge_i32_e32 vcc, v20, v18
	s_or_b64 s[36:37], vcc, s[36:37]
	v_add_u32_e32 v19, s17, v19
	s_andn2_b64 exec, exec, s[36:37]
	s_cbranch_execz .LBB17_12
.LBB17_18:                              ;   Parent Loop BB17_3 Depth=1
                                        ;     Parent Loop BB17_10 Depth=2
                                        ;       Parent Loop BB17_14 Depth=3
                                        ; =>      This Loop Header: Depth=4
                                        ;           Child Loop BB17_21 Depth 5
	s_and_saveexec_b64 s[38:39], s[4:5]
	s_cbranch_execz .LBB17_17
; %bb.19:                               ;   in Loop: Header=BB17_18 Depth=4
	s_mov_b64 s[40:41], 0
	v_mov_b32_e32 v10, v19
	v_mov_b32_e32 v21, v2
	s_branch .LBB17_21
.LBB17_20:                              ;   in Loop: Header=BB17_21 Depth=5
	s_or_b64 exec, exec, s[42:43]
	v_add_u32_e32 v21, 1, v21
	v_cmp_ge_i32_e32 vcc, v21, v17
	s_or_b64 s[40:41], vcc, s[40:41]
	v_add_u32_e32 v10, 1, v10
	s_andn2_b64 exec, exec, s[40:41]
	s_cbranch_execz .LBB17_16
.LBB17_21:                              ;   Parent Loop BB17_3 Depth=1
                                        ;     Parent Loop BB17_10 Depth=2
                                        ;       Parent Loop BB17_14 Depth=3
                                        ;         Parent Loop BB17_18 Depth=4
                                        ; =>        This Inner Loop Header: Depth=5
	v_ashrrev_i32_e32 v11, 31, v10
	v_lshlrev_b64 v[12:13], 3, v[10:11]
	v_mov_b32_e32 v11, s27
	v_add_co_u32_e32 v22, vcc, s26, v12
	v_addc_co_u32_e32 v23, vcc, v11, v13, vcc
	global_load_dwordx2 v[22:23], v[22:23], off
	s_waitcnt vmcnt(0)
	v_cmp_eq_u64_e32 vcc, v[22:23], v[4:5]
	s_and_saveexec_b64 s[42:43], vcc
	s_cbranch_execz .LBB17_20
; %bb.22:                               ;   in Loop: Header=BB17_21 Depth=5
	v_mov_b32_e32 v11, s25
	v_add_co_u32_e32 v12, vcc, s24, v12
	v_addc_co_u32_e32 v13, vcc, v11, v13, vcc
	global_load_dwordx2 v[12:13], v[12:13], off
	s_waitcnt vmcnt(0)
	v_add_f64 v[8:9], v[8:9], v[12:13]
	s_branch .LBB17_20
.LBB17_23:
	s_endpgm
	.section	.rodata,"a",@progbits
	.p2align	6, 0x0
	.amdhsa_kernel _ZN2at6native12_GLOBAL__N_122max_pool_backward_nchwIddiEEvPKT_PKlT1_S8_S8_S8_S8_S8_iiiiiiiiPS3_
		.amdhsa_group_segment_fixed_size 0
		.amdhsa_private_segment_fixed_size 0
		.amdhsa_kernarg_size 336
		.amdhsa_user_sgpr_count 6
		.amdhsa_user_sgpr_private_segment_buffer 1
		.amdhsa_user_sgpr_dispatch_ptr 0
		.amdhsa_user_sgpr_queue_ptr 0
		.amdhsa_user_sgpr_kernarg_segment_ptr 1
		.amdhsa_user_sgpr_dispatch_id 0
		.amdhsa_user_sgpr_flat_scratch_init 0
		.amdhsa_user_sgpr_kernarg_preload_length 0
		.amdhsa_user_sgpr_kernarg_preload_offset 0
		.amdhsa_user_sgpr_private_segment_size 0
		.amdhsa_uses_dynamic_stack 0
		.amdhsa_system_sgpr_private_segment_wavefront_offset 0
		.amdhsa_system_sgpr_workgroup_id_x 1
		.amdhsa_system_sgpr_workgroup_id_y 1
		.amdhsa_system_sgpr_workgroup_id_z 1
		.amdhsa_system_sgpr_workgroup_info 0
		.amdhsa_system_vgpr_workitem_id 0
		.amdhsa_next_free_vgpr 24
		.amdhsa_next_free_sgpr 62
		.amdhsa_accum_offset 24
		.amdhsa_reserve_vcc 1
		.amdhsa_reserve_flat_scratch 0
		.amdhsa_float_round_mode_32 0
		.amdhsa_float_round_mode_16_64 0
		.amdhsa_float_denorm_mode_32 3
		.amdhsa_float_denorm_mode_16_64 3
		.amdhsa_dx10_clamp 1
		.amdhsa_ieee_mode 1
		.amdhsa_fp16_overflow 0
		.amdhsa_tg_split 0
		.amdhsa_exception_fp_ieee_invalid_op 0
		.amdhsa_exception_fp_denorm_src 0
		.amdhsa_exception_fp_ieee_div_zero 0
		.amdhsa_exception_fp_ieee_overflow 0
		.amdhsa_exception_fp_ieee_underflow 0
		.amdhsa_exception_fp_ieee_inexact 0
		.amdhsa_exception_int_div_zero 0
	.end_amdhsa_kernel
	.section	.text._ZN2at6native12_GLOBAL__N_122max_pool_backward_nchwIddiEEvPKT_PKlT1_S8_S8_S8_S8_S8_iiiiiiiiPS3_,"axG",@progbits,_ZN2at6native12_GLOBAL__N_122max_pool_backward_nchwIddiEEvPKT_PKlT1_S8_S8_S8_S8_S8_iiiiiiiiPS3_,comdat
.Lfunc_end17:
	.size	_ZN2at6native12_GLOBAL__N_122max_pool_backward_nchwIddiEEvPKT_PKlT1_S8_S8_S8_S8_S8_iiiiiiiiPS3_, .Lfunc_end17-_ZN2at6native12_GLOBAL__N_122max_pool_backward_nchwIddiEEvPKT_PKlT1_S8_S8_S8_S8_S8_iiiiiiiiPS3_
                                        ; -- End function
	.section	.AMDGPU.csdata,"",@progbits
; Kernel info:
; codeLenInByte = 1264
; NumSgprs: 66
; NumVgprs: 24
; NumAgprs: 0
; TotalNumVgprs: 24
; ScratchSize: 0
; MemoryBound: 0
; FloatMode: 240
; IeeeMode: 1
; LDSByteSize: 0 bytes/workgroup (compile time only)
; SGPRBlocks: 8
; VGPRBlocks: 2
; NumSGPRsForWavesPerEU: 66
; NumVGPRsForWavesPerEU: 24
; AccumOffset: 24
; Occupancy: 8
; WaveLimiterHint : 0
; COMPUTE_PGM_RSRC2:SCRATCH_EN: 0
; COMPUTE_PGM_RSRC2:USER_SGPR: 6
; COMPUTE_PGM_RSRC2:TRAP_HANDLER: 0
; COMPUTE_PGM_RSRC2:TGID_X_EN: 1
; COMPUTE_PGM_RSRC2:TGID_Y_EN: 1
; COMPUTE_PGM_RSRC2:TGID_Z_EN: 1
; COMPUTE_PGM_RSRC2:TIDIG_COMP_CNT: 0
; COMPUTE_PGM_RSRC3_GFX90A:ACCUM_OFFSET: 5
; COMPUTE_PGM_RSRC3_GFX90A:TG_SPLIT: 0
	.section	.text._ZN2at6native12_GLOBAL__N_122max_pool_backward_nchwIddlEEvPKT_PKlT1_S8_S8_S8_S8_S8_iiiiiiiiPS3_,"axG",@progbits,_ZN2at6native12_GLOBAL__N_122max_pool_backward_nchwIddlEEvPKT_PKlT1_S8_S8_S8_S8_S8_iiiiiiiiPS3_,comdat
	.globl	_ZN2at6native12_GLOBAL__N_122max_pool_backward_nchwIddlEEvPKT_PKlT1_S8_S8_S8_S8_S8_iiiiiiiiPS3_ ; -- Begin function _ZN2at6native12_GLOBAL__N_122max_pool_backward_nchwIddlEEvPKT_PKlT1_S8_S8_S8_S8_S8_iiiiiiiiPS3_
	.p2align	8
	.type	_ZN2at6native12_GLOBAL__N_122max_pool_backward_nchwIddlEEvPKT_PKlT1_S8_S8_S8_S8_S8_iiiiiiiiPS3_,@function
_ZN2at6native12_GLOBAL__N_122max_pool_backward_nchwIddlEEvPKT_PKlT1_S8_S8_S8_S8_S8_iiiiiiiiPS3_: ; @_ZN2at6native12_GLOBAL__N_122max_pool_backward_nchwIddlEEvPKT_PKlT1_S8_S8_S8_S8_S8_iiiiiiiiPS3_
; %bb.0:
	s_load_dword s0, s[4:5], 0x74
	s_load_dwordx16 s[12:27], s[4:5], 0x0
	s_add_u32 s28, s4, 0x68
	v_mov_b32_e32 v2, 0
	s_mov_b32 s10, s7
	s_addc_u32 s29, s5, 0
	s_waitcnt lgkmcnt(0)
	s_and_b32 s7, s0, 0xffff
	v_mov_b32_e32 v1, v2
	v_mov_b32_e32 v3, s6
	v_mad_u64_u32 v[0:1], s[0:1], s7, v3, v[0:1]
	s_mul_i32 s0, s22, s21
	s_mul_hi_u32 s1, s22, s20
	s_add_i32 s0, s1, s0
	s_mul_i32 s1, s23, s20
	s_add_i32 s21, s0, s1
	s_mul_i32 s20, s22, s20
	v_cmp_gt_i64_e32 vcc, s[20:21], v[0:1]
	s_and_saveexec_b64 s[0:1], vcc
	s_cbranch_execz .LBB18_43
; %bb.1:
	s_load_dwordx8 s[36:43], s[4:5], 0x40
	s_load_dwordx2 s[30:31], s[4:5], 0x60
	s_load_dword s6, s[28:29], 0x0
	s_mul_i32 s4, s19, s10
	s_mul_hi_u32 s5, s18, s10
	s_waitcnt lgkmcnt(0)
	s_add_i32 s0, s36, -1
	s_mul_i32 s0, s0, s42
	s_add_i32 s34, s0, 1
	s_add_i32 s0, s37, -1
	s_mul_i32 s0, s0, s43
	s_add_i32 s36, s0, 1
	v_cvt_f32_u32_e32 v3, s22
	s_ashr_i32 s46, s40, 31
	s_ashr_i32 s35, s34, 31
	;; [unrolled: 1-line block ×6, first 2 shown]
	s_add_i32 s5, s5, s4
	s_mul_i32 s4, s18, s10
	s_add_u32 s4, s4, s8
	s_addc_u32 s5, s5, 0
	s_mul_i32 s66, s6, s7
	s_mul_i32 s5, s24, s5
	s_mul_hi_u32 s6, s24, s4
	v_rcp_iflag_f32_e32 v3, v3
	s_add_i32 s5, s6, s5
	s_mul_i32 s6, s25, s4
	s_add_i32 s68, s5, s6
	s_mul_i32 s69, s24, s4
	s_mul_i32 s4, s26, s25
	s_mul_hi_u32 s5, s26, s24
	s_add_i32 s4, s5, s4
	s_mul_i32 s5, s27, s24
	s_add_i32 s5, s4, s5
	s_mul_i32 s4, s26, s24
	v_mul_f32_e32 v3, 0x4f7ffffe, v3
	s_mul_i32 s6, s4, s19
	s_mul_hi_u32 s7, s4, s18
	v_cvt_u32_f32_e32 v34, v3
	s_mov_b32 s11, 0
	v_pk_mov_b32 v[4:5], s[16:17], s[16:17] op_sel:[0,1]
	s_add_i32 s6, s7, s6
	s_mul_i32 s7, s5, s18
	v_cmp_lt_i64_e64 s[0:1], s[10:11], v[4:5]
	s_mov_b32 s9, s11
	v_pk_mov_b32 v[4:5], s[18:19], s[18:19] op_sel:[0,1]
	s_add_i32 s7, s6, s7
	s_mul_i32 s6, s4, s18
	s_mov_b32 s33, s40
	s_mov_b32 s61, s38
	;; [unrolled: 1-line block ×4, first 2 shown]
	v_cmp_lt_i64_e64 s[2:3], s[8:9], v[4:5]
	s_mov_b32 s67, s11
	s_lshl_b64 s[38:39], s[6:7], 3
	s_lshl_b64 s[40:41], s[4:5], 3
	s_lshl_b64 s[42:43], s[26:27], 3
	s_mov_b64 s[44:45], 0
	v_mov_b32_e32 v35, s46
	s_branch .LBB18_3
.LBB18_2:                               ;   in Loop: Header=BB18_3 Depth=1
	v_mov_b32_e32 v3, s67
	v_add_co_u32_e32 v0, vcc, s66, v0
	v_addc_co_u32_e32 v1, vcc, v1, v3, vcc
	v_cmp_le_i64_e32 vcc, s[20:21], v[0:1]
	s_or_b64 s[44:45], vcc, s[44:45]
	s_andn2_b64 exec, exec, s[44:45]
	s_cbranch_execz .LBB18_43
.LBB18_3:                               ; =>This Loop Header: Depth=1
                                        ;     Child Loop BB18_30 Depth 2
                                        ;       Child Loop BB18_34 Depth 3
                                        ;         Child Loop BB18_38 Depth 4
                                        ;           Child Loop BB18_41 Depth 5
	v_or_b32_e32 v3, s23, v1
	v_cmp_ne_u64_e32 vcc, 0, v[2:3]
                                        ; implicit-def: $vgpr6_vgpr7
	s_and_saveexec_b64 s[4:5], vcc
	s_xor_b64 s[6:7], exec, s[4:5]
	s_cbranch_execz .LBB18_5
; %bb.4:                                ;   in Loop: Header=BB18_3 Depth=1
	s_ashr_i32 s46, s23, 31
	s_add_u32 s4, s22, s46
	s_mov_b32 s47, s46
	s_addc_u32 s5, s23, s46
	s_xor_b64 s[48:49], s[4:5], s[46:47]
	v_cvt_f32_u32_e32 v3, s48
	v_cvt_f32_u32_e32 v4, s49
	s_sub_u32 s4, 0, s48
	s_subb_u32 s5, 0, s49
	v_mac_f32_e32 v3, 0x4f800000, v4
	v_rcp_f32_e32 v3, v3
	v_mul_f32_e32 v3, 0x5f7ffffc, v3
	v_mul_f32_e32 v4, 0x2f800000, v3
	v_trunc_f32_e32 v4, v4
	v_mac_f32_e32 v3, 0xcf800000, v4
	v_cvt_u32_f32_e32 v4, v4
	v_cvt_u32_f32_e32 v3, v3
	v_mul_lo_u32 v5, s4, v4
	v_mul_hi_u32 v7, s4, v3
	v_mul_lo_u32 v6, s5, v3
	v_add_u32_e32 v5, v7, v5
	v_mul_lo_u32 v8, s4, v3
	v_add_u32_e32 v5, v5, v6
	v_mul_lo_u32 v7, v3, v5
	v_mul_hi_u32 v9, v3, v8
	v_mul_hi_u32 v6, v3, v5
	v_add_co_u32_e32 v7, vcc, v9, v7
	v_addc_co_u32_e32 v6, vcc, 0, v6, vcc
	v_mul_hi_u32 v10, v4, v8
	v_mul_lo_u32 v8, v4, v8
	v_add_co_u32_e32 v7, vcc, v7, v8
	v_mul_hi_u32 v9, v4, v5
	v_addc_co_u32_e32 v6, vcc, v6, v10, vcc
	v_addc_co_u32_e32 v7, vcc, 0, v9, vcc
	v_mul_lo_u32 v5, v4, v5
	v_add_co_u32_e32 v5, vcc, v6, v5
	v_addc_co_u32_e32 v6, vcc, 0, v7, vcc
	v_add_co_u32_e32 v3, vcc, v3, v5
	v_addc_co_u32_e32 v4, vcc, v4, v6, vcc
	v_mul_lo_u32 v5, s4, v4
	v_mul_hi_u32 v6, s4, v3
	v_add_u32_e32 v5, v6, v5
	v_mul_lo_u32 v6, s5, v3
	v_add_u32_e32 v5, v5, v6
	v_mul_lo_u32 v7, s4, v3
	v_mul_hi_u32 v8, v4, v7
	v_mul_lo_u32 v9, v4, v7
	v_mul_lo_u32 v11, v3, v5
	v_mul_hi_u32 v7, v3, v7
	v_mul_hi_u32 v10, v3, v5
	v_add_co_u32_e32 v7, vcc, v7, v11
	v_addc_co_u32_e32 v10, vcc, 0, v10, vcc
	v_add_co_u32_e32 v7, vcc, v7, v9
	v_mul_hi_u32 v6, v4, v5
	v_addc_co_u32_e32 v7, vcc, v10, v8, vcc
	v_addc_co_u32_e32 v6, vcc, 0, v6, vcc
	v_mul_lo_u32 v5, v4, v5
	v_add_co_u32_e32 v5, vcc, v7, v5
	v_addc_co_u32_e32 v6, vcc, 0, v6, vcc
	v_add_co_u32_e32 v3, vcc, v3, v5
	v_addc_co_u32_e32 v6, vcc, v4, v6, vcc
	v_ashrrev_i32_e32 v8, 31, v1
	v_add_co_u32_e32 v4, vcc, v0, v8
	v_addc_co_u32_e32 v5, vcc, v1, v8, vcc
	v_xor_b32_e32 v10, v4, v8
	v_xor_b32_e32 v9, v5, v8
	v_mad_u64_u32 v[4:5], s[4:5], v10, v6, 0
	v_mul_hi_u32 v7, v10, v3
	v_add_co_u32_e32 v11, vcc, v7, v4
	v_addc_co_u32_e32 v12, vcc, 0, v5, vcc
	v_mad_u64_u32 v[4:5], s[4:5], v9, v6, 0
	v_mad_u64_u32 v[6:7], s[4:5], v9, v3, 0
	v_add_co_u32_e32 v3, vcc, v11, v6
	v_addc_co_u32_e32 v3, vcc, v12, v7, vcc
	v_addc_co_u32_e32 v5, vcc, 0, v5, vcc
	v_add_co_u32_e32 v3, vcc, v3, v4
	v_addc_co_u32_e32 v6, vcc, 0, v5, vcc
	v_mul_lo_u32 v7, s49, v3
	v_mul_lo_u32 v11, s48, v6
	v_mad_u64_u32 v[4:5], s[4:5], s48, v3, 0
	v_add3_u32 v5, v5, v11, v7
	v_sub_u32_e32 v7, v9, v5
	v_mov_b32_e32 v11, s49
	v_sub_co_u32_e32 v4, vcc, v10, v4
	v_subb_co_u32_e64 v7, s[4:5], v7, v11, vcc
	v_subrev_co_u32_e64 v10, s[4:5], s48, v4
	v_subbrev_co_u32_e64 v7, s[4:5], 0, v7, s[4:5]
	v_cmp_le_u32_e64 s[4:5], s49, v7
	v_cndmask_b32_e64 v11, 0, -1, s[4:5]
	v_cmp_le_u32_e64 s[4:5], s48, v10
	v_cndmask_b32_e64 v10, 0, -1, s[4:5]
	v_cmp_eq_u32_e64 s[4:5], s49, v7
	v_cndmask_b32_e64 v7, v11, v10, s[4:5]
	v_add_co_u32_e64 v10, s[4:5], 2, v3
	v_subb_co_u32_e32 v5, vcc, v9, v5, vcc
	v_addc_co_u32_e64 v11, s[4:5], 0, v6, s[4:5]
	v_cmp_le_u32_e32 vcc, s49, v5
	v_add_co_u32_e64 v12, s[4:5], 1, v3
	v_cndmask_b32_e64 v9, 0, -1, vcc
	v_cmp_le_u32_e32 vcc, s48, v4
	v_addc_co_u32_e64 v13, s[4:5], 0, v6, s[4:5]
	v_cndmask_b32_e64 v4, 0, -1, vcc
	v_cmp_eq_u32_e32 vcc, s49, v5
	v_cmp_ne_u32_e64 s[4:5], 0, v7
	v_cndmask_b32_e32 v4, v9, v4, vcc
	v_cmp_ne_u32_e32 vcc, 0, v4
	v_cndmask_b32_e64 v5, v12, v10, s[4:5]
	v_cndmask_b32_e64 v7, v13, v11, s[4:5]
	v_cndmask_b32_e32 v3, v3, v5, vcc
	v_xor_b32_e32 v5, s46, v8
	v_cndmask_b32_e32 v4, v6, v7, vcc
	v_xor_b32_e32 v3, v3, v5
	v_xor_b32_e32 v4, v4, v5
	v_sub_co_u32_e32 v6, vcc, v3, v5
	v_subb_co_u32_e32 v7, vcc, v4, v5, vcc
.LBB18_5:                               ;   in Loop: Header=BB18_3 Depth=1
	s_andn2_saveexec_b64 s[4:5], s[6:7]
	s_cbranch_execz .LBB18_7
; %bb.6:                                ;   in Loop: Header=BB18_3 Depth=1
	s_sub_i32 s6, 0, s22
	v_mul_lo_u32 v3, s6, v34
	v_mul_hi_u32 v3, v34, v3
	v_add_u32_e32 v3, v34, v3
	v_mul_hi_u32 v3, v0, v3
	v_mul_lo_u32 v4, v3, s22
	v_sub_u32_e32 v4, v0, v4
	v_subrev_u32_e32 v5, s22, v4
	v_cmp_le_u32_e32 vcc, s22, v4
	v_cndmask_b32_e32 v4, v4, v5, vcc
	v_add_u32_e32 v5, 1, v3
	v_cndmask_b32_e32 v3, v3, v5, vcc
	v_add_u32_e32 v5, 1, v3
	v_cmp_le_u32_e32 vcc, s22, v4
	v_cndmask_b32_e32 v6, v3, v5, vcc
	v_mov_b32_e32 v7, v2
.LBB18_7:                               ;   in Loop: Header=BB18_3 Depth=1
	s_or_b64 exec, exec, s[4:5]
	v_add_co_u32_e32 v10, vcc, s33, v6
	v_addc_co_u32_e32 v11, vcc, v7, v35, vcc
	v_cmp_le_i64_e32 vcc, s[34:35], v[10:11]
	v_pk_mov_b32 v[4:5], 0, 0
	s_and_saveexec_b64 s[6:7], vcc
	s_cbranch_execz .LBB18_13
; %bb.8:                                ;   in Loop: Header=BB18_3 Depth=1
	v_mov_b32_e32 v3, s35
	v_subrev_co_u32_e32 v8, vcc, s34, v10
	v_subb_co_u32_e32 v9, vcc, v11, v3, vcc
	v_or_b32_e32 v3, s60, v9
	v_cmp_ne_u64_e32 vcc, 0, v[2:3]
                                        ; implicit-def: $vgpr4_vgpr5
	s_and_saveexec_b64 s[4:5], vcc
	s_xor_b64 s[46:47], exec, s[4:5]
	s_cbranch_execz .LBB18_10
; %bb.9:                                ;   in Loop: Header=BB18_3 Depth=1
	s_add_u32 s4, s61, s60
	s_mov_b32 s48, s60
	s_mov_b32 s49, s60
	s_addc_u32 s5, s60, s60
	s_xor_b64 s[50:51], s[4:5], s[48:49]
	v_cvt_f32_u32_e32 v3, s50
	v_cvt_f32_u32_e32 v4, s51
	s_sub_u32 s4, 0, s50
	s_subb_u32 s5, 0, s51
	v_mac_f32_e32 v3, 0x4f800000, v4
	v_rcp_f32_e32 v3, v3
	v_mul_f32_e32 v3, 0x5f7ffffc, v3
	v_mul_f32_e32 v4, 0x2f800000, v3
	v_trunc_f32_e32 v4, v4
	v_mac_f32_e32 v3, 0xcf800000, v4
	v_cvt_u32_f32_e32 v4, v4
	v_cvt_u32_f32_e32 v3, v3
	v_mul_lo_u32 v5, s4, v4
	v_mul_hi_u32 v13, s4, v3
	v_mul_lo_u32 v12, s5, v3
	v_add_u32_e32 v5, v13, v5
	v_mul_lo_u32 v14, s4, v3
	v_add_u32_e32 v5, v5, v12
	v_mul_lo_u32 v13, v3, v5
	v_mul_hi_u32 v15, v3, v14
	v_mul_hi_u32 v12, v3, v5
	v_add_co_u32_e32 v13, vcc, v15, v13
	v_addc_co_u32_e32 v12, vcc, 0, v12, vcc
	v_mul_hi_u32 v16, v4, v14
	v_mul_lo_u32 v14, v4, v14
	v_add_co_u32_e32 v13, vcc, v13, v14
	v_mul_hi_u32 v15, v4, v5
	v_addc_co_u32_e32 v12, vcc, v12, v16, vcc
	v_addc_co_u32_e32 v13, vcc, 0, v15, vcc
	v_mul_lo_u32 v5, v4, v5
	v_add_co_u32_e32 v5, vcc, v12, v5
	v_addc_co_u32_e32 v12, vcc, 0, v13, vcc
	v_add_co_u32_e32 v3, vcc, v3, v5
	v_addc_co_u32_e32 v4, vcc, v4, v12, vcc
	v_mul_lo_u32 v5, s4, v4
	v_mul_hi_u32 v12, s4, v3
	v_add_u32_e32 v5, v12, v5
	v_mul_lo_u32 v12, s5, v3
	v_add_u32_e32 v5, v5, v12
	v_mul_lo_u32 v13, s4, v3
	v_mul_hi_u32 v14, v4, v13
	v_mul_lo_u32 v15, v4, v13
	v_mul_lo_u32 v17, v3, v5
	v_mul_hi_u32 v13, v3, v13
	v_mul_hi_u32 v16, v3, v5
	v_add_co_u32_e32 v13, vcc, v13, v17
	v_addc_co_u32_e32 v16, vcc, 0, v16, vcc
	v_add_co_u32_e32 v13, vcc, v13, v15
	v_mul_hi_u32 v12, v4, v5
	v_addc_co_u32_e32 v13, vcc, v16, v14, vcc
	v_addc_co_u32_e32 v12, vcc, 0, v12, vcc
	v_mul_lo_u32 v5, v4, v5
	v_add_co_u32_e32 v5, vcc, v13, v5
	v_addc_co_u32_e32 v12, vcc, 0, v12, vcc
	v_add_co_u32_e32 v3, vcc, v3, v5
	v_addc_co_u32_e32 v12, vcc, v4, v12, vcc
	v_ashrrev_i32_e32 v13, 31, v9
	v_add_co_u32_e32 v4, vcc, v8, v13
	v_addc_co_u32_e32 v5, vcc, v9, v13, vcc
	v_xor_b32_e32 v15, v4, v13
	v_xor_b32_e32 v14, v5, v13
	v_mad_u64_u32 v[4:5], s[4:5], v15, v12, 0
	v_mul_hi_u32 v8, v15, v3
	v_add_co_u32_e32 v16, vcc, v8, v4
	v_addc_co_u32_e32 v17, vcc, 0, v5, vcc
	v_mad_u64_u32 v[8:9], s[4:5], v14, v3, 0
	v_add_co_u32_e32 v3, vcc, v16, v8
	v_mad_u64_u32 v[4:5], s[4:5], v14, v12, 0
	v_addc_co_u32_e32 v3, vcc, v17, v9, vcc
	v_addc_co_u32_e32 v5, vcc, 0, v5, vcc
	v_add_co_u32_e32 v3, vcc, v3, v4
	v_addc_co_u32_e32 v8, vcc, 0, v5, vcc
	v_mul_lo_u32 v9, s51, v3
	v_mul_lo_u32 v12, s50, v8
	v_mad_u64_u32 v[4:5], s[4:5], s50, v3, 0
	v_add3_u32 v5, v5, v12, v9
	v_sub_u32_e32 v9, v14, v5
	v_mov_b32_e32 v12, s51
	v_sub_co_u32_e32 v4, vcc, v15, v4
	v_subb_co_u32_e64 v9, s[4:5], v9, v12, vcc
	v_subrev_co_u32_e64 v12, s[4:5], s50, v4
	v_subbrev_co_u32_e64 v9, s[4:5], 0, v9, s[4:5]
	v_cmp_le_u32_e64 s[4:5], s51, v9
	v_cndmask_b32_e64 v15, 0, -1, s[4:5]
	v_cmp_le_u32_e64 s[4:5], s50, v12
	v_cndmask_b32_e64 v12, 0, -1, s[4:5]
	v_cmp_eq_u32_e64 s[4:5], s51, v9
	v_cndmask_b32_e64 v9, v15, v12, s[4:5]
	v_add_co_u32_e64 v12, s[4:5], 2, v3
	v_subb_co_u32_e32 v5, vcc, v14, v5, vcc
	v_addc_co_u32_e64 v15, s[4:5], 0, v8, s[4:5]
	v_cmp_le_u32_e32 vcc, s51, v5
	v_add_co_u32_e64 v16, s[4:5], 1, v3
	v_cndmask_b32_e64 v14, 0, -1, vcc
	v_cmp_le_u32_e32 vcc, s50, v4
	v_addc_co_u32_e64 v17, s[4:5], 0, v8, s[4:5]
	v_cndmask_b32_e64 v4, 0, -1, vcc
	v_cmp_eq_u32_e32 vcc, s51, v5
	v_cmp_ne_u32_e64 s[4:5], 0, v9
	v_cndmask_b32_e32 v4, v14, v4, vcc
	v_cndmask_b32_e64 v9, v17, v15, s[4:5]
	v_cmp_ne_u32_e32 vcc, 0, v4
	v_cndmask_b32_e64 v5, v16, v12, s[4:5]
	v_cndmask_b32_e32 v4, v8, v9, vcc
	v_cndmask_b32_e32 v3, v3, v5, vcc
	v_xor_b32_e32 v8, s48, v13
	v_xor_b32_e32 v5, s49, v13
	;; [unrolled: 1-line block ×4, first 2 shown]
	v_sub_co_u32_e32 v4, vcc, v3, v8
	v_subb_co_u32_e32 v5, vcc, v9, v5, vcc
                                        ; implicit-def: $vgpr8
.LBB18_10:                              ;   in Loop: Header=BB18_3 Depth=1
	s_andn2_saveexec_b64 s[4:5], s[46:47]
	s_cbranch_execz .LBB18_12
; %bb.11:                               ;   in Loop: Header=BB18_3 Depth=1
	v_cvt_f32_u32_e32 v3, s61
	s_sub_i32 s46, 0, s61
	v_rcp_iflag_f32_e32 v3, v3
	v_mul_f32_e32 v3, 0x4f7ffffe, v3
	v_cvt_u32_f32_e32 v3, v3
	v_mul_lo_u32 v4, s46, v3
	v_mul_hi_u32 v4, v3, v4
	v_add_u32_e32 v3, v3, v4
	v_mul_hi_u32 v3, v8, v3
	v_mul_lo_u32 v4, v3, s61
	v_sub_u32_e32 v4, v8, v4
	v_add_u32_e32 v5, 1, v3
	v_subrev_u32_e32 v8, s61, v4
	v_cmp_le_u32_e32 vcc, s61, v4
	v_cndmask_b32_e32 v4, v4, v8, vcc
	v_cndmask_b32_e32 v3, v3, v5, vcc
	v_add_u32_e32 v5, 1, v3
	v_cmp_le_u32_e32 vcc, s61, v4
	v_cndmask_b32_e32 v4, v3, v5, vcc
	v_mov_b32_e32 v5, v2
.LBB18_12:                              ;   in Loop: Header=BB18_3 Depth=1
	s_or_b64 exec, exec, s[4:5]
	v_add_co_u32_e32 v4, vcc, 1, v4
	v_addc_co_u32_e32 v5, vcc, 0, v5, vcc
.LBB18_13:                              ;   in Loop: Header=BB18_3 Depth=1
	s_or_b64 exec, exec, s[6:7]
	v_or_b32_e32 v3, s60, v11
	v_cmp_ne_u64_e32 vcc, 0, v[2:3]
                                        ; implicit-def: $vgpr8_vgpr9
	s_and_saveexec_b64 s[4:5], vcc
	s_xor_b64 s[6:7], exec, s[4:5]
	s_cbranch_execz .LBB18_15
; %bb.14:                               ;   in Loop: Header=BB18_3 Depth=1
	s_add_u32 s4, s61, s60
	s_mov_b32 s46, s60
	s_mov_b32 s47, s60
	s_addc_u32 s5, s60, s60
	s_xor_b64 s[48:49], s[4:5], s[46:47]
	v_cvt_f32_u32_e32 v3, s48
	v_cvt_f32_u32_e32 v8, s49
	s_sub_u32 s4, 0, s48
	s_subb_u32 s5, 0, s49
	v_mac_f32_e32 v3, 0x4f800000, v8
	v_rcp_f32_e32 v3, v3
	v_mul_f32_e32 v3, 0x5f7ffffc, v3
	v_mul_f32_e32 v8, 0x2f800000, v3
	v_trunc_f32_e32 v8, v8
	v_mac_f32_e32 v3, 0xcf800000, v8
	v_cvt_u32_f32_e32 v8, v8
	v_cvt_u32_f32_e32 v3, v3
	v_mul_lo_u32 v9, s4, v8
	v_mul_hi_u32 v13, s4, v3
	v_mul_lo_u32 v12, s5, v3
	v_add_u32_e32 v9, v13, v9
	v_mul_lo_u32 v14, s4, v3
	v_add_u32_e32 v9, v9, v12
	v_mul_lo_u32 v13, v3, v9
	v_mul_hi_u32 v15, v3, v14
	v_mul_hi_u32 v12, v3, v9
	v_add_co_u32_e32 v13, vcc, v15, v13
	v_addc_co_u32_e32 v12, vcc, 0, v12, vcc
	v_mul_hi_u32 v16, v8, v14
	v_mul_lo_u32 v14, v8, v14
	v_add_co_u32_e32 v13, vcc, v13, v14
	v_mul_hi_u32 v15, v8, v9
	v_addc_co_u32_e32 v12, vcc, v12, v16, vcc
	v_addc_co_u32_e32 v13, vcc, 0, v15, vcc
	v_mul_lo_u32 v9, v8, v9
	v_add_co_u32_e32 v9, vcc, v12, v9
	v_addc_co_u32_e32 v12, vcc, 0, v13, vcc
	v_add_co_u32_e32 v3, vcc, v3, v9
	v_addc_co_u32_e32 v8, vcc, v8, v12, vcc
	v_mul_lo_u32 v9, s4, v8
	v_mul_hi_u32 v12, s4, v3
	v_add_u32_e32 v9, v12, v9
	v_mul_lo_u32 v12, s5, v3
	v_add_u32_e32 v9, v9, v12
	v_mul_lo_u32 v13, s4, v3
	v_mul_hi_u32 v14, v8, v13
	v_mul_lo_u32 v15, v8, v13
	v_mul_lo_u32 v17, v3, v9
	v_mul_hi_u32 v13, v3, v13
	v_mul_hi_u32 v16, v3, v9
	v_add_co_u32_e32 v13, vcc, v13, v17
	v_addc_co_u32_e32 v16, vcc, 0, v16, vcc
	v_add_co_u32_e32 v13, vcc, v13, v15
	v_mul_hi_u32 v12, v8, v9
	v_addc_co_u32_e32 v13, vcc, v16, v14, vcc
	v_addc_co_u32_e32 v12, vcc, 0, v12, vcc
	v_mul_lo_u32 v9, v8, v9
	v_add_co_u32_e32 v9, vcc, v13, v9
	v_addc_co_u32_e32 v12, vcc, 0, v12, vcc
	v_add_co_u32_e32 v3, vcc, v3, v9
	v_addc_co_u32_e32 v12, vcc, v8, v12, vcc
	v_ashrrev_i32_e32 v13, 31, v11
	v_add_co_u32_e32 v8, vcc, v10, v13
	v_addc_co_u32_e32 v9, vcc, v11, v13, vcc
	v_xor_b32_e32 v15, v8, v13
	v_xor_b32_e32 v14, v9, v13
	v_mad_u64_u32 v[8:9], s[4:5], v15, v12, 0
	v_mul_hi_u32 v10, v15, v3
	v_add_co_u32_e32 v16, vcc, v10, v8
	v_addc_co_u32_e32 v17, vcc, 0, v9, vcc
	v_mad_u64_u32 v[10:11], s[4:5], v14, v3, 0
	v_add_co_u32_e32 v3, vcc, v16, v10
	v_mad_u64_u32 v[8:9], s[4:5], v14, v12, 0
	v_addc_co_u32_e32 v3, vcc, v17, v11, vcc
	v_addc_co_u32_e32 v9, vcc, 0, v9, vcc
	v_add_co_u32_e32 v3, vcc, v3, v8
	v_addc_co_u32_e32 v10, vcc, 0, v9, vcc
	v_mul_lo_u32 v11, s49, v3
	v_mul_lo_u32 v12, s48, v10
	v_mad_u64_u32 v[8:9], s[4:5], s48, v3, 0
	v_add3_u32 v9, v9, v12, v11
	v_sub_u32_e32 v11, v14, v9
	v_mov_b32_e32 v12, s49
	v_sub_co_u32_e32 v8, vcc, v15, v8
	v_subb_co_u32_e64 v11, s[4:5], v11, v12, vcc
	v_subrev_co_u32_e64 v12, s[4:5], s48, v8
	v_subbrev_co_u32_e64 v11, s[4:5], 0, v11, s[4:5]
	v_cmp_le_u32_e64 s[4:5], s49, v11
	v_cndmask_b32_e64 v15, 0, -1, s[4:5]
	v_cmp_le_u32_e64 s[4:5], s48, v12
	v_cndmask_b32_e64 v12, 0, -1, s[4:5]
	v_cmp_eq_u32_e64 s[4:5], s49, v11
	v_cndmask_b32_e64 v11, v15, v12, s[4:5]
	v_add_co_u32_e64 v12, s[4:5], 2, v3
	v_subb_co_u32_e32 v9, vcc, v14, v9, vcc
	v_addc_co_u32_e64 v15, s[4:5], 0, v10, s[4:5]
	v_cmp_le_u32_e32 vcc, s49, v9
	v_add_co_u32_e64 v16, s[4:5], 1, v3
	v_cndmask_b32_e64 v14, 0, -1, vcc
	v_cmp_le_u32_e32 vcc, s48, v8
	v_addc_co_u32_e64 v17, s[4:5], 0, v10, s[4:5]
	v_cndmask_b32_e64 v8, 0, -1, vcc
	v_cmp_eq_u32_e32 vcc, s49, v9
	v_cmp_ne_u32_e64 s[4:5], 0, v11
	v_cndmask_b32_e32 v8, v14, v8, vcc
	v_cndmask_b32_e64 v11, v17, v15, s[4:5]
	v_cmp_ne_u32_e32 vcc, 0, v8
	v_cndmask_b32_e64 v9, v16, v12, s[4:5]
	v_cndmask_b32_e32 v8, v10, v11, vcc
	v_cndmask_b32_e32 v3, v3, v9, vcc
	v_xor_b32_e32 v10, s46, v13
	v_xor_b32_e32 v9, s47, v13
	;; [unrolled: 1-line block ×4, first 2 shown]
	v_sub_co_u32_e32 v8, vcc, v3, v10
	v_subb_co_u32_e32 v9, vcc, v11, v9, vcc
                                        ; implicit-def: $vgpr10
.LBB18_15:                              ;   in Loop: Header=BB18_3 Depth=1
	s_andn2_saveexec_b64 s[4:5], s[6:7]
	s_cbranch_execz .LBB18_17
; %bb.16:                               ;   in Loop: Header=BB18_3 Depth=1
	v_cvt_f32_u32_e32 v3, s61
	s_sub_i32 s6, 0, s61
	v_rcp_iflag_f32_e32 v3, v3
	v_mul_f32_e32 v3, 0x4f7ffffe, v3
	v_cvt_u32_f32_e32 v3, v3
	v_mul_lo_u32 v8, s6, v3
	v_mul_hi_u32 v8, v3, v8
	v_add_u32_e32 v3, v3, v8
	v_mul_hi_u32 v3, v10, v3
	v_mul_lo_u32 v8, v3, s61
	v_sub_u32_e32 v8, v10, v8
	v_add_u32_e32 v9, 1, v3
	v_subrev_u32_e32 v10, s61, v8
	v_cmp_le_u32_e32 vcc, s61, v8
	v_cndmask_b32_e32 v8, v8, v10, vcc
	v_cndmask_b32_e32 v3, v3, v9, vcc
	v_add_u32_e32 v9, 1, v3
	v_cmp_le_u32_e32 vcc, s61, v8
	v_cndmask_b32_e32 v8, v3, v9, vcc
	v_mov_b32_e32 v9, v2
.LBB18_17:                              ;   in Loop: Header=BB18_3 Depth=1
	s_or_b64 exec, exec, s[4:5]
	v_mul_lo_u32 v3, v7, s22
	v_mul_lo_u32 v10, v6, s23
	v_mad_u64_u32 v[6:7], s[4:5], v6, s22, 0
	v_add3_u32 v3, v7, v10, v3
	v_sub_co_u32_e32 v6, vcc, v0, v6
	v_subb_co_u32_e32 v3, vcc, v1, v3, vcc
	v_mov_b32_e32 v7, s62
	v_add_co_u32_e32 v10, vcc, s63, v6
	v_addc_co_u32_e32 v11, vcc, v3, v7, vcc
	v_cmp_le_i64_e32 vcc, s[36:37], v[10:11]
	v_pk_mov_b32 v[6:7], 0, 0
	s_and_saveexec_b64 s[6:7], vcc
	s_cbranch_execz .LBB18_23
; %bb.18:                               ;   in Loop: Header=BB18_3 Depth=1
	v_mov_b32_e32 v3, s37
	v_subrev_co_u32_e32 v12, vcc, s36, v10
	v_subb_co_u32_e32 v13, vcc, v11, v3, vcc
	v_or_b32_e32 v3, s64, v13
	v_cmp_ne_u64_e32 vcc, 0, v[2:3]
                                        ; implicit-def: $vgpr6_vgpr7
	s_and_saveexec_b64 s[4:5], vcc
	s_xor_b64 s[46:47], exec, s[4:5]
	s_cbranch_execz .LBB18_20
; %bb.19:                               ;   in Loop: Header=BB18_3 Depth=1
	s_add_u32 s4, s65, s64
	s_mov_b32 s48, s64
	s_mov_b32 s49, s64
	s_addc_u32 s5, s64, s64
	s_xor_b64 s[50:51], s[4:5], s[48:49]
	v_cvt_f32_u32_e32 v3, s50
	v_cvt_f32_u32_e32 v6, s51
	s_sub_u32 s4, 0, s50
	s_subb_u32 s5, 0, s51
	v_mac_f32_e32 v3, 0x4f800000, v6
	v_rcp_f32_e32 v3, v3
	v_mul_f32_e32 v3, 0x5f7ffffc, v3
	v_mul_f32_e32 v6, 0x2f800000, v3
	v_trunc_f32_e32 v6, v6
	v_mac_f32_e32 v3, 0xcf800000, v6
	v_cvt_u32_f32_e32 v6, v6
	v_cvt_u32_f32_e32 v3, v3
	v_mul_lo_u32 v7, s4, v6
	v_mul_hi_u32 v15, s4, v3
	v_mul_lo_u32 v14, s5, v3
	v_add_u32_e32 v7, v15, v7
	v_mul_lo_u32 v16, s4, v3
	v_add_u32_e32 v7, v7, v14
	v_mul_lo_u32 v15, v3, v7
	v_mul_hi_u32 v17, v3, v16
	v_mul_hi_u32 v14, v3, v7
	v_add_co_u32_e32 v15, vcc, v17, v15
	v_addc_co_u32_e32 v14, vcc, 0, v14, vcc
	v_mul_hi_u32 v18, v6, v16
	v_mul_lo_u32 v16, v6, v16
	v_add_co_u32_e32 v15, vcc, v15, v16
	v_mul_hi_u32 v17, v6, v7
	v_addc_co_u32_e32 v14, vcc, v14, v18, vcc
	v_addc_co_u32_e32 v15, vcc, 0, v17, vcc
	v_mul_lo_u32 v7, v6, v7
	v_add_co_u32_e32 v7, vcc, v14, v7
	v_addc_co_u32_e32 v14, vcc, 0, v15, vcc
	v_add_co_u32_e32 v3, vcc, v3, v7
	v_addc_co_u32_e32 v6, vcc, v6, v14, vcc
	v_mul_lo_u32 v7, s4, v6
	v_mul_hi_u32 v14, s4, v3
	v_add_u32_e32 v7, v14, v7
	v_mul_lo_u32 v14, s5, v3
	v_add_u32_e32 v7, v7, v14
	v_mul_lo_u32 v15, s4, v3
	v_mul_hi_u32 v16, v6, v15
	v_mul_lo_u32 v17, v6, v15
	v_mul_lo_u32 v19, v3, v7
	v_mul_hi_u32 v15, v3, v15
	v_mul_hi_u32 v18, v3, v7
	v_add_co_u32_e32 v15, vcc, v15, v19
	v_addc_co_u32_e32 v18, vcc, 0, v18, vcc
	v_add_co_u32_e32 v15, vcc, v15, v17
	v_mul_hi_u32 v14, v6, v7
	v_addc_co_u32_e32 v15, vcc, v18, v16, vcc
	v_addc_co_u32_e32 v14, vcc, 0, v14, vcc
	v_mul_lo_u32 v7, v6, v7
	v_add_co_u32_e32 v7, vcc, v15, v7
	v_addc_co_u32_e32 v14, vcc, 0, v14, vcc
	v_add_co_u32_e32 v3, vcc, v3, v7
	v_addc_co_u32_e32 v14, vcc, v6, v14, vcc
	v_ashrrev_i32_e32 v15, 31, v13
	v_add_co_u32_e32 v6, vcc, v12, v15
	v_addc_co_u32_e32 v7, vcc, v13, v15, vcc
	v_xor_b32_e32 v17, v6, v15
	v_xor_b32_e32 v16, v7, v15
	v_mad_u64_u32 v[6:7], s[4:5], v17, v14, 0
	v_mul_hi_u32 v12, v17, v3
	v_add_co_u32_e32 v18, vcc, v12, v6
	v_addc_co_u32_e32 v19, vcc, 0, v7, vcc
	v_mad_u64_u32 v[12:13], s[4:5], v16, v3, 0
	v_add_co_u32_e32 v3, vcc, v18, v12
	v_mad_u64_u32 v[6:7], s[4:5], v16, v14, 0
	v_addc_co_u32_e32 v3, vcc, v19, v13, vcc
	v_addc_co_u32_e32 v7, vcc, 0, v7, vcc
	v_add_co_u32_e32 v3, vcc, v3, v6
	v_addc_co_u32_e32 v12, vcc, 0, v7, vcc
	v_mul_lo_u32 v13, s51, v3
	v_mul_lo_u32 v14, s50, v12
	v_mad_u64_u32 v[6:7], s[4:5], s50, v3, 0
	v_add3_u32 v7, v7, v14, v13
	v_sub_u32_e32 v13, v16, v7
	v_mov_b32_e32 v14, s51
	v_sub_co_u32_e32 v6, vcc, v17, v6
	v_subb_co_u32_e64 v13, s[4:5], v13, v14, vcc
	v_subrev_co_u32_e64 v14, s[4:5], s50, v6
	v_subbrev_co_u32_e64 v13, s[4:5], 0, v13, s[4:5]
	v_cmp_le_u32_e64 s[4:5], s51, v13
	v_cndmask_b32_e64 v17, 0, -1, s[4:5]
	v_cmp_le_u32_e64 s[4:5], s50, v14
	v_cndmask_b32_e64 v14, 0, -1, s[4:5]
	v_cmp_eq_u32_e64 s[4:5], s51, v13
	v_cndmask_b32_e64 v13, v17, v14, s[4:5]
	v_add_co_u32_e64 v14, s[4:5], 2, v3
	v_subb_co_u32_e32 v7, vcc, v16, v7, vcc
	v_addc_co_u32_e64 v17, s[4:5], 0, v12, s[4:5]
	v_cmp_le_u32_e32 vcc, s51, v7
	v_add_co_u32_e64 v18, s[4:5], 1, v3
	v_cndmask_b32_e64 v16, 0, -1, vcc
	v_cmp_le_u32_e32 vcc, s50, v6
	v_addc_co_u32_e64 v19, s[4:5], 0, v12, s[4:5]
	v_cndmask_b32_e64 v6, 0, -1, vcc
	v_cmp_eq_u32_e32 vcc, s51, v7
	v_cmp_ne_u32_e64 s[4:5], 0, v13
	v_cndmask_b32_e32 v6, v16, v6, vcc
	v_cndmask_b32_e64 v13, v19, v17, s[4:5]
	v_cmp_ne_u32_e32 vcc, 0, v6
	v_cndmask_b32_e64 v7, v18, v14, s[4:5]
	v_cndmask_b32_e32 v6, v12, v13, vcc
	v_cndmask_b32_e32 v3, v3, v7, vcc
	v_xor_b32_e32 v12, s48, v15
	v_xor_b32_e32 v7, s49, v15
	;; [unrolled: 1-line block ×4, first 2 shown]
	v_sub_co_u32_e32 v6, vcc, v3, v12
	v_subb_co_u32_e32 v7, vcc, v13, v7, vcc
                                        ; implicit-def: $vgpr12
.LBB18_20:                              ;   in Loop: Header=BB18_3 Depth=1
	s_andn2_saveexec_b64 s[4:5], s[46:47]
	s_cbranch_execz .LBB18_22
; %bb.21:                               ;   in Loop: Header=BB18_3 Depth=1
	v_cvt_f32_u32_e32 v3, s65
	s_sub_i32 s46, 0, s65
	v_rcp_iflag_f32_e32 v3, v3
	v_mul_f32_e32 v3, 0x4f7ffffe, v3
	v_cvt_u32_f32_e32 v3, v3
	v_mul_lo_u32 v6, s46, v3
	v_mul_hi_u32 v6, v3, v6
	v_add_u32_e32 v3, v3, v6
	v_mul_hi_u32 v3, v12, v3
	v_mul_lo_u32 v6, v3, s65
	v_sub_u32_e32 v6, v12, v6
	v_add_u32_e32 v7, 1, v3
	v_subrev_u32_e32 v12, s65, v6
	v_cmp_le_u32_e32 vcc, s65, v6
	v_cndmask_b32_e32 v6, v6, v12, vcc
	v_cndmask_b32_e32 v3, v3, v7, vcc
	v_add_u32_e32 v7, 1, v3
	v_cmp_le_u32_e32 vcc, s65, v6
	v_cndmask_b32_e32 v6, v3, v7, vcc
	v_mov_b32_e32 v7, v2
.LBB18_22:                              ;   in Loop: Header=BB18_3 Depth=1
	s_or_b64 exec, exec, s[4:5]
	v_add_co_u32_e32 v6, vcc, 1, v6
	v_addc_co_u32_e32 v7, vcc, 0, v7, vcc
.LBB18_23:                              ;   in Loop: Header=BB18_3 Depth=1
	s_or_b64 exec, exec, s[6:7]
	v_or_b32_e32 v3, s64, v11
	v_cmp_ne_u64_e32 vcc, 0, v[2:3]
                                        ; implicit-def: $vgpr12_vgpr13
	s_and_saveexec_b64 s[4:5], vcc
	s_xor_b64 s[6:7], exec, s[4:5]
	s_cbranch_execnz .LBB18_26
; %bb.24:                               ;   in Loop: Header=BB18_3 Depth=1
	s_andn2_saveexec_b64 s[4:5], s[6:7]
	s_cbranch_execnz .LBB18_27
.LBB18_25:                              ;   in Loop: Header=BB18_3 Depth=1
	s_or_b64 exec, exec, s[4:5]
	s_andn2_b64 vcc, exec, s[0:1]
	s_cbranch_vccnz .LBB18_2
	s_branch .LBB18_28
.LBB18_26:                              ;   in Loop: Header=BB18_3 Depth=1
	s_add_u32 s4, s65, s64
	s_mov_b32 s46, s64
	s_mov_b32 s47, s64
	s_addc_u32 s5, s64, s64
	s_xor_b64 s[48:49], s[4:5], s[46:47]
	v_cvt_f32_u32_e32 v3, s48
	v_cvt_f32_u32_e32 v12, s49
	s_sub_u32 s4, 0, s48
	s_subb_u32 s5, 0, s49
	v_mac_f32_e32 v3, 0x4f800000, v12
	v_rcp_f32_e32 v3, v3
	v_mul_f32_e32 v3, 0x5f7ffffc, v3
	v_mul_f32_e32 v12, 0x2f800000, v3
	v_trunc_f32_e32 v12, v12
	v_mac_f32_e32 v3, 0xcf800000, v12
	v_cvt_u32_f32_e32 v12, v12
	v_cvt_u32_f32_e32 v3, v3
	v_mul_lo_u32 v13, s4, v12
	v_mul_hi_u32 v15, s4, v3
	v_mul_lo_u32 v14, s5, v3
	v_add_u32_e32 v13, v15, v13
	v_mul_lo_u32 v16, s4, v3
	v_add_u32_e32 v13, v13, v14
	v_mul_lo_u32 v15, v3, v13
	v_mul_hi_u32 v17, v3, v16
	v_mul_hi_u32 v14, v3, v13
	v_add_co_u32_e32 v15, vcc, v17, v15
	v_addc_co_u32_e32 v14, vcc, 0, v14, vcc
	v_mul_hi_u32 v18, v12, v16
	v_mul_lo_u32 v16, v12, v16
	v_add_co_u32_e32 v15, vcc, v15, v16
	v_mul_hi_u32 v17, v12, v13
	v_addc_co_u32_e32 v14, vcc, v14, v18, vcc
	v_addc_co_u32_e32 v15, vcc, 0, v17, vcc
	v_mul_lo_u32 v13, v12, v13
	v_add_co_u32_e32 v13, vcc, v14, v13
	v_addc_co_u32_e32 v14, vcc, 0, v15, vcc
	v_add_co_u32_e32 v3, vcc, v3, v13
	v_addc_co_u32_e32 v12, vcc, v12, v14, vcc
	v_mul_lo_u32 v13, s4, v12
	v_mul_hi_u32 v14, s4, v3
	v_add_u32_e32 v13, v14, v13
	v_mul_lo_u32 v14, s5, v3
	v_add_u32_e32 v13, v13, v14
	v_mul_lo_u32 v15, s4, v3
	v_mul_hi_u32 v16, v12, v15
	v_mul_lo_u32 v17, v12, v15
	v_mul_lo_u32 v19, v3, v13
	v_mul_hi_u32 v15, v3, v15
	v_mul_hi_u32 v18, v3, v13
	v_add_co_u32_e32 v15, vcc, v15, v19
	v_addc_co_u32_e32 v18, vcc, 0, v18, vcc
	v_add_co_u32_e32 v15, vcc, v15, v17
	v_mul_hi_u32 v14, v12, v13
	v_addc_co_u32_e32 v15, vcc, v18, v16, vcc
	v_addc_co_u32_e32 v14, vcc, 0, v14, vcc
	v_mul_lo_u32 v13, v12, v13
	v_add_co_u32_e32 v13, vcc, v15, v13
	v_addc_co_u32_e32 v14, vcc, 0, v14, vcc
	v_add_co_u32_e32 v3, vcc, v3, v13
	v_addc_co_u32_e32 v12, vcc, v12, v14, vcc
	v_ashrrev_i32_e32 v14, 31, v11
	v_add_co_u32_e32 v10, vcc, v10, v14
	v_addc_co_u32_e32 v11, vcc, v11, v14, vcc
	v_xor_b32_e32 v16, v10, v14
	v_xor_b32_e32 v15, v11, v14
	v_mad_u64_u32 v[10:11], s[4:5], v16, v12, 0
	v_mul_hi_u32 v13, v16, v3
	v_add_co_u32_e32 v17, vcc, v13, v10
	v_addc_co_u32_e32 v18, vcc, 0, v11, vcc
	v_mad_u64_u32 v[10:11], s[4:5], v15, v12, 0
	v_mad_u64_u32 v[12:13], s[4:5], v15, v3, 0
	v_add_co_u32_e32 v3, vcc, v17, v12
	v_addc_co_u32_e32 v3, vcc, v18, v13, vcc
	v_addc_co_u32_e32 v11, vcc, 0, v11, vcc
	v_add_co_u32_e32 v3, vcc, v3, v10
	v_addc_co_u32_e32 v12, vcc, 0, v11, vcc
	v_mul_lo_u32 v13, s49, v3
	v_mul_lo_u32 v17, s48, v12
	v_mad_u64_u32 v[10:11], s[4:5], s48, v3, 0
	v_add3_u32 v11, v11, v17, v13
	v_sub_u32_e32 v13, v15, v11
	v_mov_b32_e32 v17, s49
	v_sub_co_u32_e32 v10, vcc, v16, v10
	v_subb_co_u32_e64 v13, s[4:5], v13, v17, vcc
	v_subrev_co_u32_e64 v16, s[4:5], s48, v10
	v_subbrev_co_u32_e64 v13, s[4:5], 0, v13, s[4:5]
	v_cmp_le_u32_e64 s[4:5], s49, v13
	v_cndmask_b32_e64 v17, 0, -1, s[4:5]
	v_cmp_le_u32_e64 s[4:5], s48, v16
	v_cndmask_b32_e64 v16, 0, -1, s[4:5]
	v_cmp_eq_u32_e64 s[4:5], s49, v13
	v_cndmask_b32_e64 v13, v17, v16, s[4:5]
	v_add_co_u32_e64 v16, s[4:5], 2, v3
	v_subb_co_u32_e32 v11, vcc, v15, v11, vcc
	v_addc_co_u32_e64 v17, s[4:5], 0, v12, s[4:5]
	v_cmp_le_u32_e32 vcc, s49, v11
	v_add_co_u32_e64 v18, s[4:5], 1, v3
	v_cndmask_b32_e64 v15, 0, -1, vcc
	v_cmp_le_u32_e32 vcc, s48, v10
	v_addc_co_u32_e64 v19, s[4:5], 0, v12, s[4:5]
	v_cndmask_b32_e64 v10, 0, -1, vcc
	v_cmp_eq_u32_e32 vcc, s49, v11
	v_cmp_ne_u32_e64 s[4:5], 0, v13
	v_cndmask_b32_e32 v10, v15, v10, vcc
	v_cndmask_b32_e64 v13, v19, v17, s[4:5]
	v_cmp_ne_u32_e32 vcc, 0, v10
	v_cndmask_b32_e64 v11, v18, v16, s[4:5]
	v_cndmask_b32_e32 v10, v12, v13, vcc
	v_cndmask_b32_e32 v3, v3, v11, vcc
	v_xor_b32_e32 v12, s46, v14
	v_xor_b32_e32 v11, s47, v14
	;; [unrolled: 1-line block ×4, first 2 shown]
	v_sub_co_u32_e32 v12, vcc, v3, v12
	v_subb_co_u32_e32 v13, vcc, v10, v11, vcc
                                        ; implicit-def: $vgpr10
	s_andn2_saveexec_b64 s[4:5], s[6:7]
	s_cbranch_execz .LBB18_25
.LBB18_27:                              ;   in Loop: Header=BB18_3 Depth=1
	v_cvt_f32_u32_e32 v3, s65
	s_sub_i32 s6, 0, s65
	v_mov_b32_e32 v13, v2
	v_rcp_iflag_f32_e32 v3, v3
	v_mul_f32_e32 v3, 0x4f7ffffe, v3
	v_cvt_u32_f32_e32 v3, v3
	v_mul_lo_u32 v11, s6, v3
	v_mul_hi_u32 v11, v3, v11
	v_add_u32_e32 v3, v3, v11
	v_mul_hi_u32 v3, v10, v3
	v_mul_lo_u32 v11, v3, s65
	v_sub_u32_e32 v10, v10, v11
	v_add_u32_e32 v12, 1, v3
	v_subrev_u32_e32 v11, s65, v10
	v_cmp_le_u32_e32 vcc, s65, v10
	v_cndmask_b32_e32 v10, v10, v11, vcc
	v_cndmask_b32_e32 v3, v3, v12, vcc
	v_add_u32_e32 v11, 1, v3
	v_cmp_le_u32_e32 vcc, s65, v10
	v_cndmask_b32_e32 v12, v3, v11, vcc
	s_or_b64 exec, exec, s[4:5]
	s_andn2_b64 vcc, exec, s[0:1]
	s_cbranch_vccnz .LBB18_2
.LBB18_28:                              ;   in Loop: Header=BB18_3 Depth=1
	v_add_co_u32_e32 v10, vcc, 1, v12
	v_addc_co_u32_e32 v11, vcc, 0, v13, vcc
	v_mov_b32_e32 v3, s27
	v_cmp_gt_i64_e32 vcc, s[26:27], v[10:11]
	v_cndmask_b32_e32 v11, v3, v11, vcc
	v_mov_b32_e32 v3, s26
	v_cndmask_b32_e32 v10, v3, v10, vcc
	v_add_co_u32_e32 v8, vcc, 1, v8
	v_addc_co_u32_e32 v9, vcc, 0, v9, vcc
	v_mov_b32_e32 v3, s25
	v_cmp_gt_i64_e32 vcc, s[24:25], v[8:9]
	v_cndmask_b32_e32 v9, v3, v9, vcc
	v_mov_b32_e32 v3, s24
	v_lshlrev_b64 v[12:13], 3, v[0:1]
	v_cndmask_b32_e32 v8, v3, v8, vcc
	v_mov_b32_e32 v14, s31
	v_add_co_u32_e32 v3, vcc, s30, v12
	v_addc_co_u32_e32 v36, vcc, v14, v13, vcc
	v_mov_b32_e32 v12, s68
	v_add_co_u32_e32 v13, vcc, s69, v4
	v_addc_co_u32_e32 v12, vcc, v12, v5, vcc
	s_load_dword s70, s[28:29], 0x4
	v_mul_lo_u32 v14, s26, v12
	v_mul_lo_u32 v15, s27, v13
	v_mad_u64_u32 v[12:13], s[46:47], s26, v13, v[6:7]
	v_add3_u32 v13, v15, v13, v14
	v_lshlrev_b64 v[14:15], 3, v[12:13]
	v_mov_b32_e32 v13, s15
	v_add_co_u32_e32 v12, vcc, s14, v14
	v_addc_co_u32_e32 v13, vcc, v13, v15, vcc
	s_waitcnt lgkmcnt(0)
	s_mul_i32 s46, s39, s70
	s_mul_hi_u32 s47, s38, s70
	v_mov_b32_e32 v16, s13
	v_add_co_u32_e32 v14, vcc, s12, v14
	v_cmp_lt_i64_e64 s[4:5], v[4:5], v[8:9]
	v_cmp_lt_i64_e64 s[6:7], v[6:7], v[10:11]
	s_add_i32 s71, s47, s46
	s_mul_i32 s72, s38, s70
	v_addc_co_u32_e32 v15, vcc, v16, v15, vcc
	s_mov_b64 s[46:47], s[10:11]
	s_branch .LBB18_30
.LBB18_29:                              ;   in Loop: Header=BB18_30 Depth=2
	v_mov_b32_e32 v16, s71
	v_add_co_u32_e32 v12, vcc, s72, v12
	v_addc_co_u32_e32 v13, vcc, v13, v16, vcc
	s_add_u32 s46, s46, s70
	v_add_co_u32_e32 v14, vcc, s72, v14
	s_addc_u32 s47, s47, 0
	v_addc_co_u32_e32 v15, vcc, v15, v16, vcc
	v_pk_mov_b32 v[16:17], s[16:17], s[16:17] op_sel:[0,1]
	v_cmp_ge_i64_e32 vcc, s[46:47], v[16:17]
	s_cbranch_vccnz .LBB18_2
.LBB18_30:                              ;   Parent Loop BB18_3 Depth=1
                                        ; =>  This Loop Header: Depth=2
                                        ;       Child Loop BB18_34 Depth 3
                                        ;         Child Loop BB18_38 Depth 4
                                        ;           Child Loop BB18_41 Depth 5
	s_andn2_b64 vcc, exec, s[2:3]
	s_cbranch_vccnz .LBB18_29
; %bb.31:                               ;   in Loop: Header=BB18_30 Depth=2
	s_load_dword s73, s[28:29], 0x8
	s_mul_i32 s48, s46, s19
	s_mul_hi_u32 s49, s46, s18
	s_add_i32 s48, s49, s48
	s_mul_i32 s49, s47, s18
	s_add_i32 s74, s48, s49
	s_waitcnt lgkmcnt(0)
	s_mul_i32 s48, s41, s73
	s_mul_hi_u32 s49, s40, s73
	s_mul_i32 s75, s46, s18
	s_add_i32 s76, s49, s48
	s_mul_i32 s77, s40, s73
	v_pk_mov_b32 v[16:17], v[14:15], v[14:15] op_sel:[0,1]
	v_pk_mov_b32 v[18:19], v[12:13], v[12:13] op_sel:[0,1]
	s_mov_b64 s[48:49], s[8:9]
	s_branch .LBB18_34
.LBB18_32:                              ;   in Loop: Header=BB18_34 Depth=3
	s_or_b64 exec, exec, s[52:53]
.LBB18_33:                              ;   in Loop: Header=BB18_34 Depth=3
	s_or_b64 exec, exec, s[50:51]
	s_add_u32 s50, s48, s75
	s_addc_u32 s51, s49, s74
	s_mul_i32 s51, s20, s51
	s_mul_hi_u32 s52, s20, s50
	s_add_i32 s51, s52, s51
	s_mul_i32 s52, s21, s50
	s_add_i32 s51, s51, s52
	s_mul_i32 s50, s20, s50
	s_lshl_b64 s[50:51], s[50:51], 3
	v_mov_b32_e32 v23, s51
	v_add_co_u32_e32 v22, vcc, s50, v3
	v_addc_co_u32_e32 v23, vcc, v36, v23, vcc
	global_store_dwordx2 v[22:23], v[20:21], off
	v_mov_b32_e32 v20, s76
	v_add_co_u32_e32 v18, vcc, s77, v18
	v_addc_co_u32_e32 v19, vcc, v19, v20, vcc
	s_add_u32 s48, s48, s73
	v_add_co_u32_e32 v16, vcc, s77, v16
	s_addc_u32 s49, s49, 0
	v_addc_co_u32_e32 v17, vcc, v17, v20, vcc
	v_pk_mov_b32 v[20:21], s[18:19], s[18:19] op_sel:[0,1]
	v_cmp_ge_i64_e32 vcc, s[48:49], v[20:21]
	s_cbranch_vccnz .LBB18_29
.LBB18_34:                              ;   Parent Loop BB18_3 Depth=1
                                        ;     Parent Loop BB18_30 Depth=2
                                        ; =>    This Loop Header: Depth=3
                                        ;         Child Loop BB18_38 Depth 4
                                        ;           Child Loop BB18_41 Depth 5
	v_pk_mov_b32 v[20:21], 0, 0
	s_and_saveexec_b64 s[50:51], s[4:5]
	s_cbranch_execz .LBB18_33
; %bb.35:                               ;   in Loop: Header=BB18_34 Depth=3
	s_mov_b64 s[52:53], 0
	v_pk_mov_b32 v[20:21], 0, 0
	v_pk_mov_b32 v[22:23], v[16:17], v[16:17] op_sel:[0,1]
	v_pk_mov_b32 v[24:25], v[18:19], v[18:19] op_sel:[0,1]
	;; [unrolled: 1-line block ×3, first 2 shown]
	s_branch .LBB18_38
.LBB18_36:                              ;   in Loop: Header=BB18_38 Depth=4
	s_or_b64 exec, exec, s[56:57]
.LBB18_37:                              ;   in Loop: Header=BB18_38 Depth=4
	s_or_b64 exec, exec, s[54:55]
	v_add_co_u32_e32 v26, vcc, 1, v26
	v_addc_co_u32_e32 v27, vcc, 0, v27, vcc
	v_mov_b32_e32 v28, s43
	v_add_co_u32_e32 v24, vcc, s42, v24
	v_addc_co_u32_e32 v25, vcc, v25, v28, vcc
	v_cmp_ge_i64_e32 vcc, v[26:27], v[8:9]
	s_or_b64 s[52:53], vcc, s[52:53]
	v_add_co_u32_e32 v22, vcc, s42, v22
	v_addc_co_u32_e32 v23, vcc, v23, v28, vcc
	s_andn2_b64 exec, exec, s[52:53]
	s_cbranch_execz .LBB18_32
.LBB18_38:                              ;   Parent Loop BB18_3 Depth=1
                                        ;     Parent Loop BB18_30 Depth=2
                                        ;       Parent Loop BB18_34 Depth=3
                                        ; =>      This Loop Header: Depth=4
                                        ;           Child Loop BB18_41 Depth 5
	s_and_saveexec_b64 s[54:55], s[6:7]
	s_cbranch_execz .LBB18_37
; %bb.39:                               ;   in Loop: Header=BB18_38 Depth=4
	s_mov_b64 s[56:57], 0
	v_pk_mov_b32 v[28:29], v[22:23], v[22:23] op_sel:[0,1]
	v_pk_mov_b32 v[30:31], v[24:25], v[24:25] op_sel:[0,1]
	;; [unrolled: 1-line block ×3, first 2 shown]
	s_branch .LBB18_41
.LBB18_40:                              ;   in Loop: Header=BB18_41 Depth=5
	s_or_b64 exec, exec, s[58:59]
	v_add_co_u32_e32 v32, vcc, 1, v32
	v_addc_co_u32_e32 v33, vcc, 0, v33, vcc
	v_add_co_u32_e32 v30, vcc, 8, v30
	v_addc_co_u32_e32 v31, vcc, 0, v31, vcc
	v_cmp_ge_i64_e32 vcc, v[32:33], v[10:11]
	s_or_b64 s[56:57], vcc, s[56:57]
	v_add_co_u32_e32 v28, vcc, 8, v28
	v_addc_co_u32_e32 v29, vcc, 0, v29, vcc
	s_andn2_b64 exec, exec, s[56:57]
	s_cbranch_execz .LBB18_36
.LBB18_41:                              ;   Parent Loop BB18_3 Depth=1
                                        ;     Parent Loop BB18_30 Depth=2
                                        ;       Parent Loop BB18_34 Depth=3
                                        ;         Parent Loop BB18_38 Depth=4
                                        ; =>        This Inner Loop Header: Depth=5
	global_load_dwordx2 v[38:39], v[30:31], off
	s_waitcnt vmcnt(0)
	v_cmp_eq_u64_e32 vcc, v[38:39], v[0:1]
	s_and_saveexec_b64 s[58:59], vcc
	s_cbranch_execz .LBB18_40
; %bb.42:                               ;   in Loop: Header=BB18_41 Depth=5
	global_load_dwordx2 v[38:39], v[28:29], off
	s_waitcnt vmcnt(0)
	v_add_f64 v[20:21], v[20:21], v[38:39]
	s_branch .LBB18_40
.LBB18_43:
	s_endpgm
	.section	.rodata,"a",@progbits
	.p2align	6, 0x0
	.amdhsa_kernel _ZN2at6native12_GLOBAL__N_122max_pool_backward_nchwIddlEEvPKT_PKlT1_S8_S8_S8_S8_S8_iiiiiiiiPS3_
		.amdhsa_group_segment_fixed_size 0
		.amdhsa_private_segment_fixed_size 0
		.amdhsa_kernarg_size 360
		.amdhsa_user_sgpr_count 6
		.amdhsa_user_sgpr_private_segment_buffer 1
		.amdhsa_user_sgpr_dispatch_ptr 0
		.amdhsa_user_sgpr_queue_ptr 0
		.amdhsa_user_sgpr_kernarg_segment_ptr 1
		.amdhsa_user_sgpr_dispatch_id 0
		.amdhsa_user_sgpr_flat_scratch_init 0
		.amdhsa_user_sgpr_kernarg_preload_length 0
		.amdhsa_user_sgpr_kernarg_preload_offset 0
		.amdhsa_user_sgpr_private_segment_size 0
		.amdhsa_uses_dynamic_stack 0
		.amdhsa_system_sgpr_private_segment_wavefront_offset 0
		.amdhsa_system_sgpr_workgroup_id_x 1
		.amdhsa_system_sgpr_workgroup_id_y 1
		.amdhsa_system_sgpr_workgroup_id_z 1
		.amdhsa_system_sgpr_workgroup_info 0
		.amdhsa_system_vgpr_workitem_id 0
		.amdhsa_next_free_vgpr 40
		.amdhsa_next_free_sgpr 78
		.amdhsa_accum_offset 40
		.amdhsa_reserve_vcc 1
		.amdhsa_reserve_flat_scratch 0
		.amdhsa_float_round_mode_32 0
		.amdhsa_float_round_mode_16_64 0
		.amdhsa_float_denorm_mode_32 3
		.amdhsa_float_denorm_mode_16_64 3
		.amdhsa_dx10_clamp 1
		.amdhsa_ieee_mode 1
		.amdhsa_fp16_overflow 0
		.amdhsa_tg_split 0
		.amdhsa_exception_fp_ieee_invalid_op 0
		.amdhsa_exception_fp_denorm_src 0
		.amdhsa_exception_fp_ieee_div_zero 0
		.amdhsa_exception_fp_ieee_overflow 0
		.amdhsa_exception_fp_ieee_underflow 0
		.amdhsa_exception_fp_ieee_inexact 0
		.amdhsa_exception_int_div_zero 0
	.end_amdhsa_kernel
	.section	.text._ZN2at6native12_GLOBAL__N_122max_pool_backward_nchwIddlEEvPKT_PKlT1_S8_S8_S8_S8_S8_iiiiiiiiPS3_,"axG",@progbits,_ZN2at6native12_GLOBAL__N_122max_pool_backward_nchwIddlEEvPKT_PKlT1_S8_S8_S8_S8_S8_iiiiiiiiPS3_,comdat
.Lfunc_end18:
	.size	_ZN2at6native12_GLOBAL__N_122max_pool_backward_nchwIddlEEvPKT_PKlT1_S8_S8_S8_S8_S8_iiiiiiiiPS3_, .Lfunc_end18-_ZN2at6native12_GLOBAL__N_122max_pool_backward_nchwIddlEEvPKT_PKlT1_S8_S8_S8_S8_S8_iiiiiiiiPS3_
                                        ; -- End function
	.section	.AMDGPU.csdata,"",@progbits
; Kernel info:
; codeLenInByte = 5268
; NumSgprs: 82
; NumVgprs: 40
; NumAgprs: 0
; TotalNumVgprs: 40
; ScratchSize: 0
; MemoryBound: 1
; FloatMode: 240
; IeeeMode: 1
; LDSByteSize: 0 bytes/workgroup (compile time only)
; SGPRBlocks: 10
; VGPRBlocks: 4
; NumSGPRsForWavesPerEU: 82
; NumVGPRsForWavesPerEU: 40
; AccumOffset: 40
; Occupancy: 8
; WaveLimiterHint : 0
; COMPUTE_PGM_RSRC2:SCRATCH_EN: 0
; COMPUTE_PGM_RSRC2:USER_SGPR: 6
; COMPUTE_PGM_RSRC2:TRAP_HANDLER: 0
; COMPUTE_PGM_RSRC2:TGID_X_EN: 1
; COMPUTE_PGM_RSRC2:TGID_Y_EN: 1
; COMPUTE_PGM_RSRC2:TGID_Z_EN: 1
; COMPUTE_PGM_RSRC2:TIDIG_COMP_CNT: 0
; COMPUTE_PGM_RSRC3_GFX90A:ACCUM_OFFSET: 9
; COMPUTE_PGM_RSRC3_GFX90A:TG_SPLIT: 0
	.section	.text._ZN2at6native12_GLOBAL__N_122max_pool_backward_nhwcIffEEvPKT_PKlillliiiiiiiiiiiiiiiPS3_,"axG",@progbits,_ZN2at6native12_GLOBAL__N_122max_pool_backward_nhwcIffEEvPKT_PKlillliiiiiiiiiiiiiiiPS3_,comdat
	.globl	_ZN2at6native12_GLOBAL__N_122max_pool_backward_nhwcIffEEvPKT_PKlillliiiiiiiiiiiiiiiPS3_ ; -- Begin function _ZN2at6native12_GLOBAL__N_122max_pool_backward_nhwcIffEEvPKT_PKlillliiiiiiiiiiiiiiiPS3_
	.p2align	8
	.type	_ZN2at6native12_GLOBAL__N_122max_pool_backward_nhwcIffEEvPKT_PKlillliiiiiiiiiiiiiiiPS3_,@function
_ZN2at6native12_GLOBAL__N_122max_pool_backward_nhwcIffEEvPKT_PKlillliiiiiiiiiiiiiiiPS3_: ; @_ZN2at6native12_GLOBAL__N_122max_pool_backward_nhwcIffEEvPKT_PKlillliiiiiiiiiiiiiiiPS3_
; %bb.0:
	s_load_dword s38, s[4:5], 0x10
	s_load_dwordx4 s[0:3], s[4:5], 0x7c
	s_load_dwordx8 s[12:19], s[4:5], 0x30
	s_load_dwordx8 s[20:27], s[4:5], 0x50
	v_and_b32_e32 v2, 0x3ff, v0
	s_waitcnt lgkmcnt(0)
	v_cvt_f32_u32_e32 v1, s38
	v_bfe_u32 v4, v0, 10, 10
	v_bfe_u32 v5, v0, 20, 10
	s_lshr_b32 s52, s2, 16
	v_rcp_iflag_f32_e32 v1, v1
	s_and_b32 s9, s2, 0xffff
	v_mad_u32_u24 v3, v5, s52, v4
	s_and_b32 s33, s3, 0xffff
	v_mul_f32_e32 v0, 0x4f7ffffe, v1
	v_cvt_u32_f32_e32 v6, v0
	v_mad_u64_u32 v[0:1], s[2:3], v3, s9, v[2:3]
	s_sub_i32 s2, 0, s38
	v_readfirstlane_b32 s3, v6
	s_mul_i32 s2, s2, s3
	s_mul_hi_u32 s2, s3, s2
	s_add_i32 s3, s3, s2
	s_mul_i32 s2, s9, s26
	s_mul_i32 s28, s2, s52
	;; [unrolled: 1-line block ×3, first 2 shown]
	s_mul_hi_u32 s27, s6, s3
	v_cmp_gt_u32_e32 vcc, s28, v0
	s_and_saveexec_b64 s[2:3], vcc
	s_cbranch_execz .LBB19_3
; %bb.1:
	s_mul_i32 s29, s52, s9
	s_mul_i32 s29, s29, s33
	v_lshl_add_u32 v1, v0, 2, 0
	s_lshl_b32 s30, s29, 2
	s_mov_b64 s[10:11], 0
	v_mov_b32_e32 v6, 0
.LBB19_2:                               ; =>This Inner Loop Header: Depth=1
	v_add_u32_e32 v0, s29, v0
	v_cmp_le_u32_e32 vcc, s28, v0
	ds_write_b32 v1, v6
	s_or_b64 s[10:11], vcc, s[10:11]
	v_add_u32_e32 v1, s30, v1
	s_andn2_b64 exec, exec, s[10:11]
	s_cbranch_execnz .LBB19_2
.LBB19_3:
	s_or_b64 exec, exec, s[2:3]
	s_load_dwordx4 s[28:31], s[4:5], 0x18
	s_load_dwordx2 s[10:11], s[4:5], 0x28
	s_mov_b32 s2, 0
	s_mov_b64 s[34:35], -1
	v_cvt_f32_ubyte0_e32 v0, 0
	s_waitcnt lgkmcnt(0)
	s_add_u32 s3, s30, s1
	s_addc_u32 s37, s31, 0
	s_add_u32 s36, s3, -1
	s_addc_u32 s3, s37, -1
	s_cmp_lg_u64 s[2:3], 0
	s_barrier
	s_cbranch_scc0 .LBB19_60
; %bb.4:
	v_cvt_f32_u32_e32 v1, s1
	s_sub_u32 s2, 0, s1
	s_subb_u32 s37, 0, 0
	v_madmk_f32 v1, v0, 0x4f800000, v1
	v_rcp_f32_e32 v1, v1
	v_mul_f32_e32 v1, 0x5f7ffffc, v1
	v_mul_f32_e32 v6, 0x2f800000, v1
	v_trunc_f32_e32 v6, v6
	v_madmk_f32 v1, v6, 0xcf800000, v1
	v_cvt_u32_f32_e32 v6, v6
	v_cvt_u32_f32_e32 v1, v1
	v_readfirstlane_b32 s39, v6
	v_readfirstlane_b32 s40, v1
	s_mul_i32 s41, s2, s39
	s_mul_hi_u32 s43, s2, s40
	s_mul_i32 s42, s37, s40
	s_add_i32 s41, s43, s41
	s_mul_i32 s44, s2, s40
	s_add_i32 s41, s41, s42
	s_mul_hi_u32 s42, s40, s41
	s_mul_i32 s43, s40, s41
	s_mul_hi_u32 s40, s40, s44
	s_add_u32 s40, s40, s43
	s_addc_u32 s42, 0, s42
	s_mul_hi_u32 s45, s39, s44
	s_mul_i32 s44, s39, s44
	s_add_u32 s40, s40, s44
	s_mul_hi_u32 s43, s39, s41
	s_addc_u32 s40, s42, s45
	s_addc_u32 s42, s43, 0
	s_mul_i32 s41, s39, s41
	s_add_u32 s40, s40, s41
	s_addc_u32 s41, 0, s42
	v_add_co_u32_e32 v1, vcc, s40, v1
	s_cmp_lg_u64 vcc, 0
	s_addc_u32 s39, s39, s41
	v_readfirstlane_b32 s41, v1
	s_mul_i32 s40, s2, s39
	s_mul_hi_u32 s42, s2, s41
	s_add_i32 s40, s42, s40
	s_mul_i32 s37, s37, s41
	s_add_i32 s40, s40, s37
	s_mul_i32 s2, s2, s41
	s_mul_hi_u32 s42, s39, s2
	s_mul_i32 s43, s39, s2
	s_mul_i32 s45, s41, s40
	s_mul_hi_u32 s2, s41, s2
	s_mul_hi_u32 s44, s41, s40
	s_add_u32 s2, s2, s45
	s_addc_u32 s41, 0, s44
	s_add_u32 s2, s2, s43
	s_mul_hi_u32 s37, s39, s40
	s_addc_u32 s2, s41, s42
	s_addc_u32 s37, s37, 0
	s_mul_i32 s40, s39, s40
	s_add_u32 s2, s2, s40
	s_addc_u32 s37, 0, s37
	v_add_co_u32_e32 v1, vcc, s2, v1
	s_cmp_lg_u64 vcc, 0
	s_addc_u32 s37, s39, s37
	s_ashr_i32 s40, s3, 31
	s_add_u32 s2, s36, s40
	s_mov_b32 s41, s40
	s_addc_u32 s3, s3, s40
	s_xor_b64 s[2:3], s[2:3], s[40:41]
	v_readfirstlane_b32 s43, v1
	s_mul_i32 s42, s2, s37
	s_mul_hi_u32 s44, s2, s43
	s_mul_hi_u32 s39, s2, s37
	s_add_u32 s42, s44, s42
	s_addc_u32 s39, 0, s39
	s_mul_hi_u32 s45, s3, s43
	s_mul_i32 s43, s3, s43
	s_add_u32 s42, s42, s43
	s_mul_hi_u32 s44, s3, s37
	s_addc_u32 s39, s39, s45
	s_addc_u32 s42, s44, 0
	s_mul_i32 s37, s3, s37
	s_add_u32 s37, s39, s37
	s_addc_u32 s39, 0, s42
	s_add_u32 s42, s37, 1
	s_addc_u32 s43, s39, 0
	s_add_u32 s44, s37, 2
	s_mul_i32 s46, s1, s39
	s_mul_hi_u32 s47, s1, s37
	s_addc_u32 s45, s39, 0
	s_add_i32 s47, s47, s46
	s_mul_i32 s46, s1, s37
	v_mov_b32_e32 v1, s46
	v_sub_co_u32_e32 v1, vcc, s2, v1
	s_cmp_lg_u64 vcc, 0
	s_subb_u32 s2, s3, s47
	v_subrev_co_u32_e32 v6, vcc, s1, v1
	s_cmp_lg_u64 vcc, 0
	s_subb_u32 s3, s2, 0
	v_readfirstlane_b32 s46, v6
	s_cmp_ge_u32 s46, s1
	s_cselect_b32 s46, -1, 0
	s_cmp_eq_u32 s3, 0
	s_cselect_b32 s3, s46, -1
	s_cmp_lg_u32 s3, 0
	s_cselect_b32 s3, s45, s43
	v_readfirstlane_b32 s43, v1
	s_cselect_b32 s42, s44, s42
	s_cmp_ge_u32 s43, s1
	s_cselect_b32 s43, -1, 0
	s_cmp_eq_u32 s2, 0
	s_cselect_b32 s2, s43, -1
	s_cmp_lg_u32 s2, 0
	s_cselect_b32 s3, s3, s39
	s_cselect_b32 s2, s42, s37
	s_xor_b64 s[2:3], s[2:3], s[40:41]
	s_sub_u32 s2, s2, s40
	s_subb_u32 s3, s3, s40
	s_cbranch_execnz .LBB19_6
.LBB19_5:
	v_cvt_f32_u32_e32 v1, s1
	s_sub_i32 s2, 0, s1
	s_mov_b32 s3, 0
	v_rcp_iflag_f32_e32 v1, v1
	v_mul_f32_e32 v1, 0x4f7ffffe, v1
	v_cvt_u32_f32_e32 v1, v1
	v_readfirstlane_b32 s34, v1
	s_mul_i32 s2, s2, s34
	s_mul_hi_u32 s2, s34, s2
	s_add_i32 s34, s34, s2
	s_mul_hi_u32 s2, s36, s34
	s_mul_i32 s35, s2, s1
	s_sub_i32 s35, s36, s35
	s_add_i32 s34, s2, 1
	s_sub_i32 s36, s35, s1
	s_cmp_ge_u32 s35, s1
	s_cselect_b32 s2, s34, s2
	s_cselect_b32 s35, s36, s35
	s_add_i32 s34, s2, 1
	s_cmp_ge_u32 s35, s1
	s_cselect_b32 s2, s34, s2
.LBB19_6:
	s_add_u32 s1, s10, s0
	s_addc_u32 s34, s11, 0
	s_add_u32 s1, s1, -1
	s_mov_b32 s36, 0
	s_addc_u32 s37, s34, -1
	s_cmp_lg_u64 s[36:37], 0
	s_mov_b64 s[34:35], -1
	s_cbranch_scc0 .LBB19_61
; %bb.7:
	v_cvt_f32_u32_e32 v1, s0
	s_sub_u32 s36, 0, s0
	s_subb_u32 s39, 0, 0
	v_madmk_f32 v0, v0, 0x4f800000, v1
	v_rcp_f32_e32 v0, v0
	v_mul_f32_e32 v0, 0x5f7ffffc, v0
	v_mul_f32_e32 v1, 0x2f800000, v0
	v_trunc_f32_e32 v1, v1
	v_madmk_f32 v0, v1, 0xcf800000, v0
	v_cvt_u32_f32_e32 v1, v1
	v_cvt_u32_f32_e32 v0, v0
	v_readfirstlane_b32 s40, v1
	v_readfirstlane_b32 s41, v0
	s_mul_i32 s42, s36, s40
	s_mul_hi_u32 s44, s36, s41
	s_mul_i32 s43, s39, s41
	s_add_i32 s42, s44, s42
	s_mul_i32 s45, s36, s41
	s_add_i32 s42, s42, s43
	s_mul_hi_u32 s43, s41, s42
	s_mul_i32 s44, s41, s42
	s_mul_hi_u32 s41, s41, s45
	s_add_u32 s41, s41, s44
	s_addc_u32 s43, 0, s43
	s_mul_hi_u32 s46, s40, s45
	s_mul_i32 s45, s40, s45
	s_add_u32 s41, s41, s45
	s_mul_hi_u32 s44, s40, s42
	s_addc_u32 s41, s43, s46
	s_addc_u32 s43, s44, 0
	s_mul_i32 s42, s40, s42
	s_add_u32 s41, s41, s42
	s_addc_u32 s42, 0, s43
	v_add_co_u32_e32 v0, vcc, s41, v0
	s_cmp_lg_u64 vcc, 0
	s_addc_u32 s40, s40, s42
	v_readfirstlane_b32 s42, v0
	s_mul_i32 s41, s36, s40
	s_mul_hi_u32 s43, s36, s42
	s_add_i32 s41, s43, s41
	s_mul_i32 s39, s39, s42
	s_add_i32 s41, s41, s39
	s_mul_i32 s36, s36, s42
	s_mul_hi_u32 s43, s40, s36
	s_mul_i32 s44, s40, s36
	s_mul_i32 s46, s42, s41
	s_mul_hi_u32 s36, s42, s36
	s_mul_hi_u32 s45, s42, s41
	s_add_u32 s36, s36, s46
	s_addc_u32 s42, 0, s45
	s_add_u32 s36, s36, s44
	s_mul_hi_u32 s39, s40, s41
	s_addc_u32 s36, s42, s43
	s_addc_u32 s39, s39, 0
	s_mul_i32 s41, s40, s41
	s_add_u32 s36, s36, s41
	s_addc_u32 s39, 0, s39
	v_add_co_u32_e32 v0, vcc, s36, v0
	s_cmp_lg_u64 vcc, 0
	s_addc_u32 s39, s40, s39
	s_ashr_i32 s40, s37, 31
	s_add_u32 s36, s1, s40
	s_mov_b32 s41, s40
	s_addc_u32 s37, s37, s40
	s_xor_b64 s[36:37], s[36:37], s[40:41]
	v_readfirstlane_b32 s44, v0
	s_mul_i32 s43, s36, s39
	s_mul_hi_u32 s45, s36, s44
	s_mul_hi_u32 s42, s36, s39
	s_add_u32 s43, s45, s43
	s_addc_u32 s42, 0, s42
	s_mul_hi_u32 s46, s37, s44
	s_mul_i32 s44, s37, s44
	s_add_u32 s43, s43, s44
	s_mul_hi_u32 s45, s37, s39
	s_addc_u32 s42, s42, s46
	s_addc_u32 s43, s45, 0
	s_mul_i32 s39, s37, s39
	s_add_u32 s39, s42, s39
	s_addc_u32 s42, 0, s43
	s_add_u32 s43, s39, 1
	s_addc_u32 s44, s42, 0
	s_add_u32 s45, s39, 2
	s_mul_i32 s47, s0, s42
	s_mul_hi_u32 s48, s0, s39
	s_addc_u32 s46, s42, 0
	s_add_i32 s48, s48, s47
	s_mul_i32 s47, s0, s39
	v_mov_b32_e32 v0, s47
	v_sub_co_u32_e32 v0, vcc, s36, v0
	s_cmp_lg_u64 vcc, 0
	s_subb_u32 s36, s37, s48
	v_subrev_co_u32_e32 v1, vcc, s0, v0
	s_cmp_lg_u64 vcc, 0
	s_subb_u32 s37, s36, 0
	v_readfirstlane_b32 s47, v1
	s_cmp_ge_u32 s47, s0
	s_cselect_b32 s47, -1, 0
	s_cmp_eq_u32 s37, 0
	s_cselect_b32 s37, s47, -1
	s_cmp_lg_u32 s37, 0
	s_cselect_b32 s37, s46, s44
	v_readfirstlane_b32 s44, v0
	s_cselect_b32 s43, s45, s43
	s_cmp_ge_u32 s44, s0
	s_cselect_b32 s44, -1, 0
	s_cmp_eq_u32 s36, 0
	s_cselect_b32 s36, s44, -1
	s_cmp_lg_u32 s36, 0
	s_cselect_b32 s37, s37, s42
	s_cselect_b32 s36, s43, s39
	s_xor_b64 s[36:37], s[36:37], s[40:41]
	s_sub_u32 s36, s36, s40
	s_subb_u32 s37, s37, s40
	s_cbranch_execnz .LBB19_9
.LBB19_8:
	v_cvt_f32_u32_e32 v0, s0
	s_sub_i32 s34, 0, s0
	s_mov_b32 s37, 0
	v_rcp_iflag_f32_e32 v0, v0
	v_mul_f32_e32 v0, 0x4f7ffffe, v0
	v_cvt_u32_f32_e32 v0, v0
	v_readfirstlane_b32 s35, v0
	s_mul_i32 s34, s34, s35
	s_mul_hi_u32 s34, s35, s34
	s_add_i32 s35, s35, s34
	s_mul_hi_u32 s34, s1, s35
	s_mul_i32 s36, s34, s0
	s_sub_i32 s1, s1, s36
	s_add_i32 s35, s34, 1
	s_sub_i32 s36, s1, s0
	s_cmp_ge_u32 s1, s0
	s_cselect_b32 s34, s35, s34
	s_cselect_b32 s1, s36, s1
	s_add_i32 s35, s34, 1
	s_cmp_ge_u32 s1, s0
	s_cselect_b32 s36, s35, s34
.LBB19_9:
	s_mul_i32 s8, s8, s2
	v_add_u32_e32 v18, s8, v5
	s_bfe_i64 s[0:1], s[2:3], 0x200000
	v_ashrrev_i32_e32 v1, 31, v18
	v_mov_b32_e32 v5, s1
	v_add_co_u32_e32 v0, vcc, s0, v18
	v_addc_co_u32_e32 v1, vcc, v5, v1, vcc
	v_mov_b32_e32 v5, s30
	v_cmp_gt_i64_e32 vcc, s[30:31], v[0:1]
	v_cndmask_b32_e32 v19, v5, v0, vcc
	v_cmp_lt_i32_e32 vcc, v18, v19
	s_and_saveexec_b64 s[0:1], vcc
	s_cbranch_execz .LBB19_59
; %bb.10:
	s_mul_i32 s7, s7, s36
	v_add_u32_e32 v20, s7, v4
	s_bfe_i64 s[0:1], s[36:37], 0x200000
	v_mov_b32_e32 v4, s1
	v_add_co_u32_e32 v0, vcc, s0, v20
	s_load_dwordx4 s[0:3], s[4:5], 0x0
	s_load_dwordx2 s[34:35], s[4:5], 0x70
	s_mul_i32 s4, s27, s38
	s_sub_i32 s4, s6, s4
	s_add_i32 s5, s27, 1
	s_sub_i32 s7, s4, s38
	s_cmp_ge_u32 s4, s38
	s_cselect_b32 s5, s5, s27
	s_cselect_b32 s4, s7, s4
	s_add_i32 s7, s5, 1
	s_cmp_ge_u32 s4, s38
	s_cselect_b32 s8, s7, s5
	s_mul_i32 s5, s30, s29
	s_mul_hi_u32 s7, s30, s28
	v_ashrrev_i32_e32 v1, 31, v20
	s_add_i32 s5, s7, s5
	s_mul_i32 s7, s31, s28
	v_addc_co_u32_e32 v1, vcc, v4, v1, vcc
	s_mul_i32 s4, s8, s38
	s_add_i32 s5, s5, s7
	s_mul_i32 s7, s30, s28
	v_cmp_gt_i64_e32 vcc, s[10:11], v[0:1]
	s_sub_i32 s6, s6, s4
	s_mul_i32 s11, s7, s11
	s_mul_hi_u32 s27, s7, s10
	s_ashr_i32 s4, s6, 31
	s_add_i32 s11, s27, s11
	s_mul_i32 s5, s5, s10
	s_mul_i32 s7, s7, s10
	s_add_i32 s5, s11, s5
	s_mul_i32 s4, s7, s4
	s_mul_hi_u32 s11, s7, s6
	s_mul_i32 s5, s5, s6
	s_add_i32 s4, s11, s4
	s_add_i32 s5, s4, s5
	s_mul_i32 s4, s7, s6
	s_lshl_b64 s[4:5], s[4:5], 2
	s_waitcnt lgkmcnt(0)
	s_add_u32 s11, s34, s4
	s_mul_i32 s4, s13, s12
	s_mul_i32 s4, s4, s6
	s_addc_u32 s53, s35, s5
	s_ashr_i32 s5, s4, 31
	s_mul_i32 s6, s4, s29
	s_mul_hi_u32 s7, s4, s28
	s_add_i32 s6, s7, s6
	s_mul_i32 s5, s5, s28
	s_add_i32 s5, s6, s5
	s_mul_i32 s4, s4, s28
	s_lshl_b64 s[6:7], s[4:5], 3
	s_add_u32 s54, s2, s6
	s_addc_u32 s55, s3, s7
	s_lshl_b64 s[2:3], s[4:5], 2
	s_add_u32 s56, s0, s2
	v_mov_b32_e32 v4, s10
	s_addc_u32 s57, s1, s3
	s_abs_i32 s61, s16
	v_cndmask_b32_e32 v21, v4, v0, vcc
	v_cvt_f32_u32_e32 v4, s61
	s_abs_i32 s64, s17
	v_cvt_f32_u32_e32 v5, s64
	s_sub_i32 s2, 0, s61
	v_rcp_iflag_f32_e32 v4, v4
	s_mul_i32 s0, s8, s9
	v_rcp_iflag_f32_e32 v5, v5
	v_mul_lo_u32 v3, s26, v3
	v_mul_f32_e32 v4, 0x4f7ffffe, v4
	v_cvt_u32_f32_e32 v4, v4
	v_mul_f32_e32 v5, 0x4f7ffffe, v5
	v_cvt_u32_f32_e32 v5, v5
	v_add_u32_e32 v0, s0, v2
	v_mul_lo_u32 v6, s2, v4
	v_mul_hi_u32 v6, v4, v6
	s_sub_i32 s2, 0, s64
	v_add_u32_e32 v22, v4, v6
	v_mul_lo_u32 v4, s2, v5
	s_add_i32 s2, s8, s25
	s_add_i32 s58, s14, -1
	s_add_i32 s60, s15, -1
	s_mul_i32 s2, s2, s9
	v_mul_lo_u32 v3, v3, s9
	s_mul_i32 s58, s58, s20
	s_mul_i32 s60, s60, s21
	v_ashrrev_i32_e32 v1, 31, v0
	v_mul_hi_u32 v4, v5, v4
	v_mul_lo_u32 v24, s22, v0
	s_mul_i32 s22, s25, s22
	v_add_u32_e32 v25, s2, v2
	v_lshlrev_b32_e32 v3, 2, v3
	v_lshlrev_b32_e32 v2, 2, v2
	s_not_b32 s59, s58
	v_cmp_lt_i32_e32 vcc, v20, v21
	s_not_b32 s62, s60
	v_cmp_gt_i64_e64 s[0:1], s[28:29], v[0:1]
	s_mul_i32 s63, s9, s25
	s_ashr_i32 s65, s16, 31
	s_ashr_i32 s66, s17, 31
	v_add_u32_e32 v23, v5, v4
	s_mul_i32 s22, s22, s9
	v_add3_u32 v26, v3, v2, 0
	s_lshl_b32 s25, s9, 2
	s_mov_b64 s[14:15], 0
	v_mov_b32_e32 v27, 0
                                        ; implicit-def: $vgpr28
                                        ; implicit-def: $vgpr29
                                        ; implicit-def: $vgpr30
                                        ; implicit-def: $vgpr31
	s_branch .LBB19_13
.LBB19_11:                              ;   in Loop: Header=BB19_13 Depth=1
	s_or_b64 exec, exec, s[20:21]
.LBB19_12:                              ;   in Loop: Header=BB19_13 Depth=1
	s_or_b64 exec, exec, s[16:17]
	v_add_u32_e32 v18, s33, v18
	v_cmp_ge_i32_e64 s[2:3], v18, v19
	s_or_b64 s[14:15], s[2:3], s[14:15]
	s_andn2_b64 exec, exec, s[14:15]
	s_cbranch_execz .LBB19_59
.LBB19_13:                              ; =>This Loop Header: Depth=1
                                        ;     Child Loop BB19_19 Depth 2
                                        ;       Child Loop BB19_28 Depth 3
                                        ;         Child Loop BB19_31 Depth 4
                                        ;           Child Loop BB19_34 Depth 5
                                        ;       Child Loop BB19_40 Depth 3
                                        ;       Child Loop BB19_51 Depth 3
	;; [unrolled: 1-line block ×3, first 2 shown]
	v_add_u32_e32 v2, s18, v18
	v_cmp_lt_i32_e64 s[2:3], s58, v2
	v_mov_b32_e32 v32, 0
	s_and_saveexec_b64 s[4:5], s[2:3]
	s_cbranch_execz .LBB19_15
; %bb.14:                               ;   in Loop: Header=BB19_13 Depth=1
	v_add_u32_e32 v3, s59, v2
	v_sub_u32_e32 v5, 0, v3
	v_ashrrev_i32_e32 v4, 31, v3
	v_max_i32_e32 v3, v3, v5
	v_mul_hi_u32 v5, v3, v22
	v_mul_lo_u32 v6, v5, s61
	v_sub_u32_e32 v3, v3, v6
	v_add_u32_e32 v6, 1, v5
	v_cmp_le_u32_e64 s[2:3], s61, v3
	v_cndmask_b32_e64 v5, v5, v6, s[2:3]
	v_subrev_u32_e32 v6, s61, v3
	v_cndmask_b32_e64 v3, v3, v6, s[2:3]
	v_add_u32_e32 v6, 1, v5
	v_cmp_le_u32_e64 s[2:3], s61, v3
	v_xor_b32_e32 v4, s65, v4
	v_cndmask_b32_e64 v3, v5, v6, s[2:3]
	v_xor_b32_e32 v3, v3, v4
	v_sub_u32_e32 v3, v3, v4
	v_add_u32_e32 v32, 1, v3
.LBB19_15:                              ;   in Loop: Header=BB19_13 Depth=1
	s_or_b64 exec, exec, s[4:5]
	s_and_saveexec_b64 s[16:17], vcc
	s_cbranch_execz .LBB19_12
; %bb.16:                               ;   in Loop: Header=BB19_13 Depth=1
	v_sub_u32_e32 v4, 0, v2
	v_ashrrev_i32_e32 v3, 31, v2
	v_max_i32_e32 v2, v2, v4
	v_mul_hi_u32 v4, v2, v22
	v_mul_lo_u32 v5, v4, s61
	v_sub_u32_e32 v2, v2, v5
	v_add_u32_e32 v5, 1, v4
	v_cmp_le_u32_e64 s[2:3], s61, v2
	v_cndmask_b32_e64 v4, v4, v5, s[2:3]
	v_subrev_u32_e32 v5, s61, v2
	v_cndmask_b32_e64 v2, v2, v5, s[2:3]
	v_add_u32_e32 v5, 1, v4
	v_cmp_le_u32_e64 s[2:3], s61, v2
	v_xor_b32_e32 v3, s65, v3
	v_cndmask_b32_e64 v2, v4, v5, s[2:3]
	v_xor_b32_e32 v2, v2, v3
	v_sub_u32_e32 v2, v2, v3
	v_add_u32_e32 v2, 1, v2
	v_min_i32_e32 v33, s12, v2
	v_sub_u32_e32 v2, v33, v32
	v_cmp_gt_i32_e64 s[8:9], 3, v2
	v_mul_lo_u32 v2, v32, s23
	v_ashrrev_i32_e32 v3, 31, v2
	v_lshlrev_b64 v[4:5], 3, v[2:3]
	v_mov_b32_e32 v6, s55
	v_add_co_u32_e64 v3, s[4:5], s54, v4
	v_add_u32_e32 v8, 1, v32
	v_addc_co_u32_e64 v35, s[4:5], v6, v5, s[4:5]
	v_add_u32_e32 v6, s23, v2
	v_cmp_eq_u32_e64 s[6:7], v8, v33
	v_ashrrev_i32_e32 v7, 31, v6
	v_mul_lo_u32 v34, v18, s10
	v_cmp_gt_i32_e64 s[2:3], v33, v32
	v_cmp_lt_i32_e64 s[4:5], v8, v33
	v_mul_lo_u32 v36, s23, v8
	s_mov_b64 s[20:21], 0
	s_xor_b64 s[26:27], s[6:7], -1
	s_xor_b64 s[30:31], s[8:9], -1
	v_lshlrev_b64 v[6:7], 3, v[6:7]
	v_mov_b32_e32 v37, v20
	s_branch .LBB19_19
.LBB19_17:                              ;   in Loop: Header=BB19_19 Depth=2
	s_or_b64 exec, exec, s[34:35]
.LBB19_18:                              ;   in Loop: Header=BB19_19 Depth=2
	s_or_b64 exec, exec, s[8:9]
	v_add_u32_e32 v37, s52, v37
	v_cmp_ge_i32_e64 s[6:7], v37, v21
	s_or_b64 s[20:21], s[6:7], s[20:21]
	s_andn2_b64 exec, exec, s[20:21]
	s_cbranch_execz .LBB19_11
.LBB19_19:                              ;   Parent Loop BB19_13 Depth=1
                                        ; =>  This Loop Header: Depth=2
                                        ;       Child Loop BB19_28 Depth 3
                                        ;         Child Loop BB19_31 Depth 4
                                        ;           Child Loop BB19_34 Depth 5
                                        ;       Child Loop BB19_40 Depth 3
                                        ;       Child Loop BB19_51 Depth 3
	;; [unrolled: 1-line block ×3, first 2 shown]
	v_add_u32_e32 v8, s19, v37
	v_cmp_lt_i32_e64 s[6:7], s60, v8
	v_mov_b32_e32 v16, 0
	s_and_saveexec_b64 s[8:9], s[6:7]
	s_cbranch_execz .LBB19_21
; %bb.20:                               ;   in Loop: Header=BB19_19 Depth=2
	v_add_u32_e32 v9, s62, v8
	v_sub_u32_e32 v11, 0, v9
	v_ashrrev_i32_e32 v10, 31, v9
	v_max_i32_e32 v9, v9, v11
	v_mul_hi_u32 v11, v9, v23
	v_mul_lo_u32 v12, v11, s64
	v_sub_u32_e32 v9, v9, v12
	v_add_u32_e32 v12, 1, v11
	v_cmp_le_u32_e64 s[6:7], s64, v9
	v_cndmask_b32_e64 v11, v11, v12, s[6:7]
	v_subrev_u32_e32 v12, s64, v9
	v_cndmask_b32_e64 v9, v9, v12, s[6:7]
	v_add_u32_e32 v12, 1, v11
	v_cmp_le_u32_e64 s[6:7], s64, v9
	v_xor_b32_e32 v10, s66, v10
	v_cndmask_b32_e64 v9, v11, v12, s[6:7]
	v_xor_b32_e32 v9, v9, v10
	v_sub_u32_e32 v9, v9, v10
	v_add_u32_e32 v16, 1, v9
.LBB19_21:                              ;   in Loop: Header=BB19_19 Depth=2
	s_or_b64 exec, exec, s[8:9]
	v_sub_u32_e32 v10, 0, v8
	v_ashrrev_i32_e32 v9, 31, v8
	v_max_i32_e32 v8, v8, v10
	v_mul_hi_u32 v10, v8, v23
	v_mul_lo_u32 v11, v10, s64
	v_sub_u32_e32 v8, v8, v11
	v_add_u32_e32 v11, 1, v10
	v_cmp_le_u32_e64 s[6:7], s64, v8
	v_cndmask_b32_e64 v10, v10, v11, s[6:7]
	v_subrev_u32_e32 v11, s64, v8
	v_cndmask_b32_e64 v8, v8, v11, s[6:7]
	v_add_u32_e32 v11, 1, v10
	v_cmp_le_u32_e64 s[6:7], s64, v8
	v_xor_b32_e32 v9, s66, v9
	v_cndmask_b32_e64 v8, v10, v11, s[6:7]
	v_xor_b32_e32 v8, v8, v9
	v_sub_u32_e32 v8, v8, v9
	v_add_u32_e32 v8, 1, v8
	v_min_i32_e32 v17, s13, v8
	v_add_u32_e32 v10, 1, v16
	v_cmp_ne_u32_e64 s[6:7], v10, v17
	v_add_u32_e32 v8, v37, v34
	s_or_b64 s[6:7], s[26:27], s[6:7]
	s_and_saveexec_b64 s[8:9], s[6:7]
	s_xor_b64 s[34:35], exec, s[8:9]
	s_cbranch_execz .LBB19_53
; %bb.22:                               ;   in Loop: Header=BB19_19 Depth=2
	v_sub_u32_e32 v9, v17, v16
	v_cmp_lt_i32_e64 s[6:7], 2, v9
	s_or_b64 s[6:7], s[30:31], s[6:7]
	s_and_saveexec_b64 s[8:9], s[6:7]
	s_xor_b64 s[36:37], exec, s[8:9]
	s_cbranch_execnz .LBB19_25
; %bb.23:                               ;   in Loop: Header=BB19_19 Depth=2
	s_andn2_saveexec_b64 s[36:37], s[36:37]
	s_cbranch_execnz .LBB19_37
.LBB19_24:                              ;   in Loop: Header=BB19_19 Depth=2
	s_or_b64 exec, exec, s[36:37]
	s_and_saveexec_b64 s[8:9], s[0:1]
	s_cbranch_execnz .LBB19_50
	s_branch .LBB19_52
.LBB19_25:                              ;   in Loop: Header=BB19_19 Depth=2
	s_and_saveexec_b64 s[38:39], s[2:3]
	s_cbranch_execz .LBB19_36
; %bb.26:                               ;   in Loop: Header=BB19_19 Depth=2
	v_mad_u64_u32 v[10:11], s[8:9], s24, v16, v[2:3]
	v_cmp_gt_i32_e64 s[6:7], v17, v16
	v_ashrrev_i32_e32 v9, 31, v8
	s_mov_b64 s[40:41], 0
	v_mov_b32_e32 v11, v32
	s_branch .LBB19_28
.LBB19_27:                              ;   in Loop: Header=BB19_28 Depth=3
	s_or_b64 exec, exec, s[42:43]
	v_add_u32_e32 v11, 1, v11
	v_cmp_ge_i32_e64 s[8:9], v11, v33
	s_or_b64 s[40:41], s[8:9], s[40:41]
	v_add_u32_e32 v10, s23, v10
	s_andn2_b64 exec, exec, s[40:41]
	s_cbranch_execz .LBB19_36
.LBB19_28:                              ;   Parent Loop BB19_13 Depth=1
                                        ;     Parent Loop BB19_19 Depth=2
                                        ; =>    This Loop Header: Depth=3
                                        ;         Child Loop BB19_31 Depth 4
                                        ;           Child Loop BB19_34 Depth 5
	s_and_saveexec_b64 s[42:43], s[6:7]
	s_cbranch_execz .LBB19_27
; %bb.29:                               ;   in Loop: Header=BB19_28 Depth=3
	v_mul_lo_u32 v12, v11, s23
	v_ashrrev_i32_e32 v13, 31, v12
	v_lshlrev_b64 v[12:13], 3, v[12:13]
	v_mov_b32_e32 v14, s55
	v_add_co_u32_e64 v38, s[8:9], s54, v12
	v_addc_co_u32_e64 v39, s[8:9], v14, v13, s[8:9]
	s_mov_b64 s[44:45], 0
	v_mov_b32_e32 v40, v10
	v_mov_b32_e32 v41, v16
	s_branch .LBB19_31
.LBB19_30:                              ;   in Loop: Header=BB19_31 Depth=4
	s_or_b64 exec, exec, s[46:47]
	v_add_u32_e32 v41, 1, v41
	v_cmp_ge_i32_e64 s[8:9], v41, v17
	s_or_b64 s[44:45], s[8:9], s[44:45]
	v_add_u32_e32 v40, s24, v40
	s_andn2_b64 exec, exec, s[44:45]
	s_cbranch_execz .LBB19_27
.LBB19_31:                              ;   Parent Loop BB19_13 Depth=1
                                        ;     Parent Loop BB19_19 Depth=2
                                        ;       Parent Loop BB19_28 Depth=3
                                        ; =>      This Loop Header: Depth=4
                                        ;           Child Loop BB19_34 Depth 5
	s_and_saveexec_b64 s[46:47], s[0:1]
	s_cbranch_execz .LBB19_30
; %bb.32:                               ;   in Loop: Header=BB19_31 Depth=4
	v_mul_lo_u32 v12, v41, s24
	v_ashrrev_i32_e32 v13, 31, v12
	v_lshlrev_b64 v[12:13], 3, v[12:13]
	v_add_co_u32_e64 v42, s[8:9], v38, v12
	v_addc_co_u32_e64 v43, s[8:9], v39, v13, s[8:9]
	s_mov_b64 s[48:49], 0
	v_mov_b32_e32 v44, v26
	v_mov_b32_e32 v12, v25
	;; [unrolled: 1-line block ×3, first 2 shown]
	s_branch .LBB19_34
.LBB19_33:                              ;   in Loop: Header=BB19_34 Depth=5
	s_or_b64 exec, exec, s[50:51]
	v_ashrrev_i32_e32 v13, 31, v12
	v_cmp_le_i64_e64 s[8:9], s[28:29], v[12:13]
	v_add_u32_e32 v14, s22, v14
	v_add_u32_e32 v12, s63, v12
	s_or_b64 s[48:49], s[8:9], s[48:49]
	v_add_u32_e32 v44, s25, v44
	s_andn2_b64 exec, exec, s[48:49]
	s_cbranch_execz .LBB19_30
.LBB19_34:                              ;   Parent Loop BB19_13 Depth=1
                                        ;     Parent Loop BB19_19 Depth=2
                                        ;       Parent Loop BB19_28 Depth=3
                                        ;         Parent Loop BB19_31 Depth=4
                                        ; =>        This Inner Loop Header: Depth=5
	v_ashrrev_i32_e32 v15, 31, v14
	v_lshlrev_b64 v[46:47], 3, v[14:15]
	v_add_co_u32_e64 v46, s[8:9], v42, v46
	v_addc_co_u32_e64 v47, s[8:9], v43, v47, s[8:9]
	global_load_dwordx2 v[46:47], v[46:47], off
	s_waitcnt vmcnt(0)
	v_cmp_eq_u64_e64 s[8:9], v[46:47], v[8:9]
	s_and_saveexec_b64 s[50:51], s[8:9]
	s_cbranch_execz .LBB19_33
; %bb.35:                               ;   in Loop: Header=BB19_34 Depth=5
	v_add_u32_e32 v46, v40, v14
	v_ashrrev_i32_e32 v47, 31, v46
	v_lshlrev_b64 v[46:47], 2, v[46:47]
	v_mov_b32_e32 v13, s57
	v_add_co_u32_e64 v46, s[8:9], s56, v46
	v_addc_co_u32_e64 v47, s[8:9], v13, v47, s[8:9]
	global_load_dword v13, v[46:47], off
	ds_read_b32 v15, v44
	s_waitcnt vmcnt(0) lgkmcnt(0)
	v_add_f32_e32 v13, v13, v15
	ds_write_b32 v44, v13
	s_branch .LBB19_33
.LBB19_36:                              ;   in Loop: Header=BB19_19 Depth=2
	s_or_b64 exec, exec, s[38:39]
                                        ; implicit-def: $vgpr17
                                        ; implicit-def: $vgpr16
                                        ; implicit-def: $vgpr10
	s_andn2_saveexec_b64 s[36:37], s[36:37]
	s_cbranch_execz .LBB19_24
.LBB19_37:                              ;   in Loop: Header=BB19_19 Depth=2
	s_and_saveexec_b64 s[38:39], s[0:1]
	s_cbranch_execz .LBB19_49
; %bb.38:                               ;   in Loop: Header=BB19_19 Depth=2
	v_mul_lo_u32 v12, v16, s24
	v_add_u32_e32 v14, s24, v12
	v_cmp_gt_i32_e64 s[6:7], v17, v16
	v_ashrrev_i32_e32 v13, 31, v12
	v_cmp_lt_i32_e64 s[8:9], v10, v17
	v_ashrrev_i32_e32 v15, 31, v14
	v_not_b32_e32 v9, v8
	s_and_b64 s[40:41], s[2:3], s[6:7]
	s_and_b64 s[42:43], s[2:3], s[8:9]
	;; [unrolled: 1-line block ×4, first 2 shown]
	v_add_u32_e32 v38, v36, v14
	v_add_u32_e32 v39, v36, v12
	;; [unrolled: 1-line block ×4, first 2 shown]
	s_mov_b64 s[46:47], 0
	v_lshlrev_b64 v[10:11], 3, v[12:13]
	v_lshlrev_b64 v[12:13], 3, v[14:15]
	v_mov_b32_e32 v42, v26
	v_mov_b32_e32 v14, v25
	;; [unrolled: 1-line block ×3, first 2 shown]
	s_branch .LBB19_40
.LBB19_39:                              ;   in Loop: Header=BB19_40 Depth=3
	s_or_b64 exec, exec, s[48:49]
	s_waitcnt vmcnt(0)
	v_add_f32_e32 v45, 0, v31
	v_cmp_eq_u32_e64 s[6:7], v15, v8
	v_cndmask_b32_e64 v15, 0, v45, s[6:7]
	v_add_f32_e32 v45, v15, v30
	v_cmp_eq_u32_e64 s[6:7], v17, v8
	v_cndmask_b32_e64 v15, v15, v45, s[6:7]
	ds_read_b32 v45, v42
	v_add_f32_e32 v17, v15, v29
	v_cmp_eq_u32_e64 s[6:7], v43, v8
	v_cndmask_b32_e64 v15, v15, v17, s[6:7]
	v_add_f32_e32 v17, v15, v28
	v_cmp_eq_u32_e64 s[6:7], v44, v8
	v_cndmask_b32_e64 v15, v15, v17, s[6:7]
	s_waitcnt lgkmcnt(0)
	v_add_f32_e32 v15, v15, v45
	ds_write_b32 v42, v15
	v_ashrrev_i32_e32 v15, 31, v14
	v_cmp_le_i64_e64 s[6:7], s[28:29], v[14:15]
	v_add_u32_e32 v16, s22, v16
	v_add_u32_e32 v14, s63, v14
	s_or_b64 s[46:47], s[6:7], s[46:47]
	v_add_u32_e32 v42, s25, v42
	s_andn2_b64 exec, exec, s[46:47]
	s_cbranch_execz .LBB19_48
.LBB19_40:                              ;   Parent Loop BB19_13 Depth=1
                                        ;     Parent Loop BB19_19 Depth=2
                                        ; =>    This Inner Loop Header: Depth=3
	v_ashrrev_i32_e32 v17, 31, v16
	v_lshlrev_b64 v[44:45], 3, v[16:17]
	v_mov_b32_e32 v15, s55
	v_add_co_u32_e64 v43, s[6:7], s54, v44
	v_addc_co_u32_e64 v44, s[6:7], v15, v45, s[6:7]
	v_add_co_u32_e64 v45, s[6:7], v43, v4
	v_addc_co_u32_e64 v46, s[6:7], v44, v5, s[6:7]
	v_mov_b32_e32 v15, v9
	s_and_saveexec_b64 s[48:49], s[40:41]
	s_cbranch_execz .LBB19_42
; %bb.41:                               ;   in Loop: Header=BB19_40 Depth=3
	v_add_co_u32_e64 v48, s[6:7], v45, v10
	v_addc_co_u32_e64 v49, s[6:7], v46, v11, s[6:7]
	global_load_dword v15, v[48:49], off
	v_add_u32_e32 v48, v41, v16
	v_ashrrev_i32_e32 v49, 31, v48
	v_lshlrev_b64 v[48:49], 2, v[48:49]
	v_mov_b32_e32 v17, s57
	v_add_co_u32_e64 v48, s[6:7], s56, v48
	v_addc_co_u32_e64 v49, s[6:7], v17, v49, s[6:7]
	global_load_dword v31, v[48:49], off
.LBB19_42:                              ;   in Loop: Header=BB19_40 Depth=3
	s_or_b64 exec, exec, s[48:49]
	v_mov_b32_e32 v17, v9
	s_and_saveexec_b64 s[48:49], s[42:43]
	s_cbranch_execz .LBB19_44
; %bb.43:                               ;   in Loop: Header=BB19_40 Depth=3
	v_add_co_u32_e64 v48, s[6:7], v45, v12
	v_addc_co_u32_e64 v49, s[6:7], v46, v13, s[6:7]
	v_add_u32_e32 v46, v40, v16
	v_ashrrev_i32_e32 v47, 31, v46
	v_lshlrev_b64 v[46:47], 2, v[46:47]
	v_mov_b32_e32 v30, s57
	v_add_co_u32_e64 v46, s[6:7], s56, v46
	v_addc_co_u32_e64 v47, s[6:7], v30, v47, s[6:7]
	global_load_dword v17, v[48:49], off
	global_load_dword v30, v[46:47], off
.LBB19_44:                              ;   in Loop: Header=BB19_40 Depth=3
	s_or_b64 exec, exec, s[48:49]
	v_add_co_u32_e64 v45, s[6:7], v43, v6
	v_addc_co_u32_e64 v46, s[6:7], v44, v7, s[6:7]
	v_mov_b32_e32 v43, v9
	s_and_saveexec_b64 s[48:49], s[44:45]
	s_cbranch_execz .LBB19_46
; %bb.45:                               ;   in Loop: Header=BB19_40 Depth=3
	v_add_co_u32_e64 v48, s[6:7], v45, v10
	v_addc_co_u32_e64 v49, s[6:7], v46, v11, s[6:7]
	global_load_dword v43, v[48:49], off
	v_add_u32_e32 v48, v39, v16
	v_ashrrev_i32_e32 v49, 31, v48
	v_lshlrev_b64 v[48:49], 2, v[48:49]
	v_mov_b32_e32 v29, s57
	v_add_co_u32_e64 v48, s[6:7], s56, v48
	v_addc_co_u32_e64 v49, s[6:7], v29, v49, s[6:7]
	global_load_dword v29, v[48:49], off
.LBB19_46:                              ;   in Loop: Header=BB19_40 Depth=3
	s_or_b64 exec, exec, s[48:49]
	v_mov_b32_e32 v44, v9
	s_and_saveexec_b64 s[48:49], s[8:9]
	s_cbranch_execz .LBB19_39
; %bb.47:                               ;   in Loop: Header=BB19_40 Depth=3
	v_add_co_u32_e64 v44, s[6:7], v45, v12
	v_addc_co_u32_e64 v45, s[6:7], v46, v13, s[6:7]
	v_add_u32_e32 v46, v38, v16
	v_ashrrev_i32_e32 v47, 31, v46
	v_lshlrev_b64 v[46:47], 2, v[46:47]
	v_mov_b32_e32 v28, s57
	v_add_co_u32_e64 v46, s[6:7], s56, v46
	v_addc_co_u32_e64 v47, s[6:7], v28, v47, s[6:7]
	global_load_dword v44, v[44:45], off
	s_nop 0
	global_load_dword v28, v[46:47], off
	s_branch .LBB19_39
.LBB19_48:                              ;   in Loop: Header=BB19_19 Depth=2
	s_or_b64 exec, exec, s[46:47]
.LBB19_49:                              ;   in Loop: Header=BB19_19 Depth=2
	s_or_b64 exec, exec, s[38:39]
	s_or_b64 exec, exec, s[36:37]
	s_and_saveexec_b64 s[8:9], s[0:1]
	s_cbranch_execz .LBB19_52
.LBB19_50:                              ;   in Loop: Header=BB19_19 Depth=2
	v_ashrrev_i32_e32 v9, 31, v8
	v_mul_lo_u32 v10, v8, s29
	v_mul_lo_u32 v11, v9, s28
	v_mad_u64_u32 v[8:9], s[6:7], v8, s28, 0
	v_add3_u32 v9, v9, v10, v11
	v_lshlrev_b64 v[8:9], 2, v[8:9]
	v_mov_b32_e32 v10, s53
	v_add_co_u32_e64 v12, s[6:7], s11, v8
	v_addc_co_u32_e64 v13, s[6:7], v10, v9, s[6:7]
	s_mov_b64 s[36:37], 0
	v_mov_b32_e32 v14, v26
	v_mov_b32_e32 v8, v25
	v_pk_mov_b32 v[10:11], v[0:1], v[0:1] op_sel:[0,1]
.LBB19_51:                              ;   Parent Loop BB19_13 Depth=1
                                        ;     Parent Loop BB19_19 Depth=2
                                        ; =>    This Inner Loop Header: Depth=3
	ds_read_b32 v15, v14
	v_lshlrev_b64 v[10:11], 2, v[10:11]
	v_add_co_u32_e64 v16, s[6:7], v12, v10
	v_ashrrev_i32_e32 v9, 31, v8
	v_addc_co_u32_e64 v17, s[6:7], v13, v11, s[6:7]
	v_cmp_le_i64_e64 s[6:7], s[28:29], v[8:9]
	ds_write_b32 v14, v27
	v_add_u32_e32 v14, s25, v14
	v_pk_mov_b32 v[10:11], v[8:9], v[8:9] op_sel:[0,1]
	v_add_u32_e32 v8, s63, v8
	s_or_b64 s[36:37], s[6:7], s[36:37]
	s_waitcnt lgkmcnt(1)
	global_store_dword v[16:17], v15, off
	s_andn2_b64 exec, exec, s[36:37]
	s_cbranch_execnz .LBB19_51
.LBB19_52:                              ;   in Loop: Header=BB19_19 Depth=2
	s_or_b64 exec, exec, s[8:9]
                                        ; implicit-def: $vgpr16
                                        ; implicit-def: $vgpr8
.LBB19_53:                              ;   in Loop: Header=BB19_19 Depth=2
	s_andn2_saveexec_b64 s[8:9], s[34:35]
	s_cbranch_execz .LBB19_18
; %bb.54:                               ;   in Loop: Header=BB19_19 Depth=2
	s_and_saveexec_b64 s[34:35], s[0:1]
	s_cbranch_execz .LBB19_17
; %bb.55:                               ;   in Loop: Header=BB19_19 Depth=2
	v_mul_lo_u32 v10, v16, s24
	v_ashrrev_i32_e32 v11, 31, v10
	v_lshlrev_b64 v[12:13], 3, v[10:11]
	v_add_co_u32_e64 v16, s[6:7], v3, v12
	v_ashrrev_i32_e32 v9, 31, v8
	v_addc_co_u32_e64 v17, s[6:7], v35, v13, s[6:7]
	v_mul_lo_u32 v11, v8, s29
	v_mul_lo_u32 v14, v9, s28
	v_mad_u64_u32 v[12:13], s[6:7], v8, s28, 0
	v_add3_u32 v13, v13, v11, v14
	v_lshlrev_b64 v[12:13], 2, v[12:13]
	v_mov_b32_e32 v11, s53
	v_add_co_u32_e64 v38, s[6:7], s11, v12
	v_addc_co_u32_e64 v39, s[6:7], v11, v13, s[6:7]
	v_add_u32_e32 v40, v10, v2
	s_mov_b64 s[36:37], 0
	v_mov_b32_e32 v10, v25
	v_mov_b32_e32 v12, v24
	v_pk_mov_b32 v[14:15], v[0:1], v[0:1] op_sel:[0,1]
	s_branch .LBB19_57
.LBB19_56:                              ;   in Loop: Header=BB19_57 Depth=3
	s_or_b64 exec, exec, s[38:39]
	v_ashrrev_i32_e32 v11, 31, v10
	v_cmp_le_i64_e64 s[6:7], s[28:29], v[10:11]
	v_pk_mov_b32 v[14:15], v[10:11], v[10:11] op_sel:[0,1]
	v_add_u32_e32 v12, s22, v12
	s_or_b64 s[36:37], s[6:7], s[36:37]
	v_add_u32_e32 v10, s63, v10
	s_andn2_b64 exec, exec, s[36:37]
	s_cbranch_execz .LBB19_17
.LBB19_57:                              ;   Parent Loop BB19_13 Depth=1
                                        ;     Parent Loop BB19_19 Depth=2
                                        ; =>    This Inner Loop Header: Depth=3
	v_ashrrev_i32_e32 v13, 31, v12
	v_lshlrev_b64 v[42:43], 3, v[12:13]
	v_add_co_u32_e64 v42, s[6:7], v16, v42
	v_addc_co_u32_e64 v43, s[6:7], v17, v43, s[6:7]
	global_load_dwordx2 v[42:43], v[42:43], off
	s_waitcnt vmcnt(0)
	v_cmp_eq_u64_e64 s[6:7], v[42:43], v[8:9]
	s_and_saveexec_b64 s[38:39], s[6:7]
	s_cbranch_execz .LBB19_56
; %bb.58:                               ;   in Loop: Header=BB19_57 Depth=3
	v_add_u32_e32 v42, v40, v12
	v_ashrrev_i32_e32 v43, 31, v42
	v_lshlrev_b64 v[42:43], 2, v[42:43]
	v_mov_b32_e32 v11, s57
	v_add_co_u32_e64 v42, s[6:7], s56, v42
	v_addc_co_u32_e64 v43, s[6:7], v11, v43, s[6:7]
	global_load_dword v11, v[42:43], off
	v_lshlrev_b64 v[14:15], 2, v[14:15]
	v_add_co_u32_e64 v14, s[6:7], v38, v14
	v_addc_co_u32_e64 v15, s[6:7], v39, v15, s[6:7]
	s_waitcnt vmcnt(0)
	global_store_dword v[14:15], v11, off
	s_branch .LBB19_56
.LBB19_59:
	s_endpgm
.LBB19_60:
                                        ; implicit-def: $sgpr2_sgpr3
	s_andn2_b64 vcc, exec, s[34:35]
	s_cbranch_vccz .LBB19_5
	s_branch .LBB19_6
.LBB19_61:
                                        ; implicit-def: $sgpr36_sgpr37
	s_andn2_b64 vcc, exec, s[34:35]
	s_cbranch_vccz .LBB19_8
	s_branch .LBB19_9
	.section	.rodata,"a",@progbits
	.p2align	6, 0x0
	.amdhsa_kernel _ZN2at6native12_GLOBAL__N_122max_pool_backward_nhwcIffEEvPKT_PKlillliiiiiiiiiiiiiiiPS3_
		.amdhsa_group_segment_fixed_size 0
		.amdhsa_private_segment_fixed_size 0
		.amdhsa_kernarg_size 376
		.amdhsa_user_sgpr_count 6
		.amdhsa_user_sgpr_private_segment_buffer 1
		.amdhsa_user_sgpr_dispatch_ptr 0
		.amdhsa_user_sgpr_queue_ptr 0
		.amdhsa_user_sgpr_kernarg_segment_ptr 1
		.amdhsa_user_sgpr_dispatch_id 0
		.amdhsa_user_sgpr_flat_scratch_init 0
		.amdhsa_user_sgpr_kernarg_preload_length 0
		.amdhsa_user_sgpr_kernarg_preload_offset 0
		.amdhsa_user_sgpr_private_segment_size 0
		.amdhsa_uses_dynamic_stack 0
		.amdhsa_system_sgpr_private_segment_wavefront_offset 0
		.amdhsa_system_sgpr_workgroup_id_x 1
		.amdhsa_system_sgpr_workgroup_id_y 1
		.amdhsa_system_sgpr_workgroup_id_z 1
		.amdhsa_system_sgpr_workgroup_info 0
		.amdhsa_system_vgpr_workitem_id 2
		.amdhsa_next_free_vgpr 50
		.amdhsa_next_free_sgpr 67
		.amdhsa_accum_offset 52
		.amdhsa_reserve_vcc 1
		.amdhsa_reserve_flat_scratch 0
		.amdhsa_float_round_mode_32 0
		.amdhsa_float_round_mode_16_64 0
		.amdhsa_float_denorm_mode_32 3
		.amdhsa_float_denorm_mode_16_64 3
		.amdhsa_dx10_clamp 1
		.amdhsa_ieee_mode 1
		.amdhsa_fp16_overflow 0
		.amdhsa_tg_split 0
		.amdhsa_exception_fp_ieee_invalid_op 0
		.amdhsa_exception_fp_denorm_src 0
		.amdhsa_exception_fp_ieee_div_zero 0
		.amdhsa_exception_fp_ieee_overflow 0
		.amdhsa_exception_fp_ieee_underflow 0
		.amdhsa_exception_fp_ieee_inexact 0
		.amdhsa_exception_int_div_zero 0
	.end_amdhsa_kernel
	.section	.text._ZN2at6native12_GLOBAL__N_122max_pool_backward_nhwcIffEEvPKT_PKlillliiiiiiiiiiiiiiiPS3_,"axG",@progbits,_ZN2at6native12_GLOBAL__N_122max_pool_backward_nhwcIffEEvPKT_PKlillliiiiiiiiiiiiiiiPS3_,comdat
.Lfunc_end19:
	.size	_ZN2at6native12_GLOBAL__N_122max_pool_backward_nhwcIffEEvPKT_PKlillliiiiiiiiiiiiiiiPS3_, .Lfunc_end19-_ZN2at6native12_GLOBAL__N_122max_pool_backward_nhwcIffEEvPKT_PKlillliiiiiiiiiiiiiiiPS3_
                                        ; -- End function
	.section	.AMDGPU.csdata,"",@progbits
; Kernel info:
; codeLenInByte = 4408
; NumSgprs: 71
; NumVgprs: 50
; NumAgprs: 0
; TotalNumVgprs: 50
; ScratchSize: 0
; MemoryBound: 0
; FloatMode: 240
; IeeeMode: 1
; LDSByteSize: 0 bytes/workgroup (compile time only)
; SGPRBlocks: 8
; VGPRBlocks: 6
; NumSGPRsForWavesPerEU: 71
; NumVGPRsForWavesPerEU: 50
; AccumOffset: 52
; Occupancy: 8
; WaveLimiterHint : 0
; COMPUTE_PGM_RSRC2:SCRATCH_EN: 0
; COMPUTE_PGM_RSRC2:USER_SGPR: 6
; COMPUTE_PGM_RSRC2:TRAP_HANDLER: 0
; COMPUTE_PGM_RSRC2:TGID_X_EN: 1
; COMPUTE_PGM_RSRC2:TGID_Y_EN: 1
; COMPUTE_PGM_RSRC2:TGID_Z_EN: 1
; COMPUTE_PGM_RSRC2:TIDIG_COMP_CNT: 2
; COMPUTE_PGM_RSRC3_GFX90A:ACCUM_OFFSET: 12
; COMPUTE_PGM_RSRC3_GFX90A:TG_SPLIT: 0
	.section	.text._ZN2at6native12_GLOBAL__N_122max_pool_backward_nchwIffiEEvPKT_PKlT1_S8_S8_S8_S8_S8_iiiiiiiiPS3_,"axG",@progbits,_ZN2at6native12_GLOBAL__N_122max_pool_backward_nchwIffiEEvPKT_PKlT1_S8_S8_S8_S8_S8_iiiiiiiiPS3_,comdat
	.globl	_ZN2at6native12_GLOBAL__N_122max_pool_backward_nchwIffiEEvPKT_PKlT1_S8_S8_S8_S8_S8_iiiiiiiiPS3_ ; -- Begin function _ZN2at6native12_GLOBAL__N_122max_pool_backward_nchwIffiEEvPKT_PKlT1_S8_S8_S8_S8_S8_iiiiiiiiPS3_
	.p2align	8
	.type	_ZN2at6native12_GLOBAL__N_122max_pool_backward_nchwIffiEEvPKT_PKlT1_S8_S8_S8_S8_S8_iiiiiiiiPS3_,@function
_ZN2at6native12_GLOBAL__N_122max_pool_backward_nchwIffiEEvPKT_PKlT1_S8_S8_S8_S8_S8_iiiiiiiiPS3_: ; @_ZN2at6native12_GLOBAL__N_122max_pool_backward_nchwIffiEEvPKT_PKlT1_S8_S8_S8_S8_S8_iiiiiiiiPS3_
; %bb.0:
	s_load_dword s0, s[4:5], 0x5c
	s_load_dwordx8 s[12:19], s[4:5], 0x10
	s_add_u32 s10, s4, 0x50
	s_addc_u32 s11, s5, 0
	v_mov_b32_e32 v1, 0
	s_waitcnt lgkmcnt(0)
	s_and_b32 s0, s0, 0xffff
	v_mov_b32_e32 v2, s6
	s_mul_i32 s28, s15, s14
	v_mad_u64_u32 v[0:1], s[2:3], s0, v2, v[0:1]
	s_ashr_i32 s29, s28, 31
	v_cmp_gt_i64_e32 vcc, s[28:29], v[0:1]
	s_and_saveexec_b64 s[2:3], vcc
	s_cbranch_execz .LBB20_23
; %bb.1:
	s_load_dwordx8 s[20:27], s[4:5], 0x30
	s_load_dword s1, s[10:11], 0x0
	s_add_i32 s6, s18, -1
	s_add_i32 s9, s19, -1
	s_mul_i32 s53, s17, s16
	s_waitcnt lgkmcnt(0)
	s_mul_i32 s6, s6, s24
	s_mul_i32 s9, s9, s25
	s_not_b32 s14, s6
	s_not_b32 s33, s9
	s_cmp_lt_i32 s7, s12
	s_cselect_b64 s[2:3], -1, 0
	s_cmp_lt_i32 s8, s13
	s_cselect_b64 s[18:19], -1, 0
	s_abs_i32 s44, s15
	v_cvt_f32_u32_e32 v2, s44
	s_abs_i32 s48, s20
	v_cvt_f32_u32_e32 v3, s48
	s_mul_i32 s45, s1, s0
	v_rcp_iflag_f32_e32 v2, v2
	s_sub_i32 s0, 0, s44
	s_abs_i32 s49, s21
	v_rcp_iflag_f32_e32 v5, v3
	v_mul_f32_e32 v2, 0x4f7ffffe, v2
	v_cvt_u32_f32_e32 v2, v2
	s_load_dwordx4 s[24:27], s[4:5], 0x0
	s_load_dwordx2 s[30:31], s[4:5], 0x48
	s_mov_b32 s46, 0
	s_ashr_i32 s47, s15, 31
	v_mul_lo_u32 v4, s0, v2
	v_mul_hi_u32 v4, v2, v4
	v_add_u32_e32 v3, v2, v4
	v_cvt_f32_u32_e32 v2, s49
	v_mul_f32_e32 v4, 0x4f7ffffe, v5
	v_cvt_u32_f32_e32 v4, v4
	s_sub_i32 s0, 0, s48
	v_rcp_iflag_f32_e32 v2, v2
	s_ashr_i32 s50, s20, 31
	v_mul_lo_u32 v5, s0, v4
	v_mul_hi_u32 v5, v4, v5
	v_mul_f32_e32 v2, 0x4f7ffffe, v2
	v_cvt_u32_f32_e32 v2, v2
	s_sub_i32 s0, 0, s49
	v_add_u32_e32 v10, v4, v5
	s_ashr_i32 s51, s21, 31
	v_mul_lo_u32 v4, s0, v2
	v_mul_hi_u32 v4, v2, v4
	s_mul_i32 s0, s7, s13
	v_add_u32_e32 v11, v2, v4
	s_add_i32 s0, s8, s0
	v_cndmask_b32_e64 v2, 0, 1, s[2:3]
	s_mul_i32 s52, s16, s0
	s_mul_i32 s54, s53, s13
	s_mov_b64 s[20:21], 0
	v_cmp_ne_u32_e64 s[0:1], 1, v2
	s_branch .LBB20_3
.LBB20_2:                               ;   in Loop: Header=BB20_3 Depth=1
	v_mov_b32_e32 v2, s46
	v_add_co_u32_e32 v0, vcc, s45, v0
	v_addc_co_u32_e32 v1, vcc, v1, v2, vcc
	v_cmp_le_i64_e32 vcc, s[28:29], v[0:1]
	s_or_b64 s[20:21], vcc, s[20:21]
	s_andn2_b64 exec, exec, s[20:21]
	s_cbranch_execz .LBB20_23
.LBB20_3:                               ; =>This Loop Header: Depth=1
                                        ;     Child Loop BB20_10 Depth 2
                                        ;       Child Loop BB20_14 Depth 3
                                        ;         Child Loop BB20_18 Depth 4
                                        ;           Child Loop BB20_21 Depth 5
	v_sub_u32_e32 v4, 0, v0
	v_max_i32_e32 v4, v0, v4
	v_mul_hi_u32 v5, v4, v3
	v_mul_lo_u32 v6, v5, s44
	v_sub_u32_e32 v4, v4, v6
	v_add_u32_e32 v6, 1, v5
	v_cmp_le_u32_e32 vcc, s44, v4
	v_cndmask_b32_e32 v5, v5, v6, vcc
	v_subrev_u32_e32 v6, s44, v4
	v_cndmask_b32_e32 v4, v4, v6, vcc
	v_ashrrev_i32_e32 v2, 31, v0
	v_add_u32_e32 v6, 1, v5
	v_cmp_le_u32_e32 vcc, s44, v4
	v_xor_b32_e32 v2, s47, v2
	v_cndmask_b32_e32 v4, v5, v6, vcc
	v_xor_b32_e32 v4, v4, v2
	v_sub_u32_e32 v5, v4, v2
	v_add_u32_e32 v4, s22, v5
	v_cmp_lt_i32_e32 vcc, s6, v4
	v_mov_b32_e32 v2, 0
	v_mov_b32_e32 v12, 0
	s_and_saveexec_b64 s[2:3], vcc
	s_cbranch_execz .LBB20_5
; %bb.4:                                ;   in Loop: Header=BB20_3 Depth=1
	v_add_u32_e32 v6, s14, v4
	v_sub_u32_e32 v8, 0, v6
	v_ashrrev_i32_e32 v7, 31, v6
	v_max_i32_e32 v6, v6, v8
	v_mul_hi_u32 v8, v6, v10
	v_mul_lo_u32 v9, v8, s48
	v_sub_u32_e32 v6, v6, v9
	v_add_u32_e32 v9, 1, v8
	v_cmp_le_u32_e32 vcc, s48, v6
	v_cndmask_b32_e32 v8, v8, v9, vcc
	v_subrev_u32_e32 v9, s48, v6
	v_cndmask_b32_e32 v6, v6, v9, vcc
	v_add_u32_e32 v9, 1, v8
	v_cmp_le_u32_e32 vcc, s48, v6
	v_xor_b32_e32 v7, s50, v7
	v_cndmask_b32_e32 v6, v8, v9, vcc
	v_xor_b32_e32 v6, v6, v7
	v_sub_u32_e32 v6, v6, v7
	v_add_u32_e32 v12, 1, v6
.LBB20_5:                               ;   in Loop: Header=BB20_3 Depth=1
	s_or_b64 exec, exec, s[2:3]
	v_mul_lo_u32 v5, v5, s15
	v_sub_u32_e32 v5, v0, v5
	v_add_u32_e32 v5, s23, v5
	v_cmp_lt_i32_e32 vcc, s9, v5
	s_and_saveexec_b64 s[2:3], vcc
	s_cbranch_execz .LBB20_7
; %bb.6:                                ;   in Loop: Header=BB20_3 Depth=1
	v_add_u32_e32 v2, s33, v5
	v_sub_u32_e32 v7, 0, v2
	v_ashrrev_i32_e32 v6, 31, v2
	v_max_i32_e32 v2, v2, v7
	v_mul_hi_u32 v7, v2, v11
	v_mul_lo_u32 v8, v7, s49
	v_sub_u32_e32 v2, v2, v8
	v_add_u32_e32 v8, 1, v7
	v_cmp_le_u32_e32 vcc, s49, v2
	v_cndmask_b32_e32 v7, v7, v8, vcc
	v_subrev_u32_e32 v8, s49, v2
	v_cndmask_b32_e32 v2, v2, v8, vcc
	v_add_u32_e32 v8, 1, v7
	v_cmp_le_u32_e32 vcc, s49, v2
	v_xor_b32_e32 v6, s51, v6
	v_cndmask_b32_e32 v2, v7, v8, vcc
	v_xor_b32_e32 v2, v2, v6
	v_sub_u32_e32 v2, v2, v6
	v_add_u32_e32 v2, 1, v2
.LBB20_7:                               ;   in Loop: Header=BB20_3 Depth=1
	s_or_b64 exec, exec, s[2:3]
	s_and_b64 vcc, exec, s[0:1]
	s_cbranch_vccnz .LBB20_2
; %bb.8:                                ;   in Loop: Header=BB20_3 Depth=1
	v_sub_u32_e32 v7, 0, v5
	v_ashrrev_i32_e32 v6, 31, v5
	v_max_i32_e32 v5, v5, v7
	v_mul_hi_u32 v7, v5, v11
	v_mul_lo_u32 v8, v7, s49
	v_sub_u32_e32 v5, v5, v8
	v_add_u32_e32 v8, 1, v7
	v_cmp_le_u32_e32 vcc, s49, v5
	v_cndmask_b32_e32 v7, v7, v8, vcc
	v_subrev_u32_e32 v8, s49, v5
	v_cndmask_b32_e32 v5, v5, v8, vcc
	v_add_u32_e32 v8, 1, v7
	v_cmp_le_u32_e32 vcc, s49, v5
	v_xor_b32_e32 v6, s51, v6
	v_cndmask_b32_e32 v5, v7, v8, vcc
	v_xor_b32_e32 v5, v5, v6
	v_sub_u32_e32 v5, v5, v6
	v_add_u32_e32 v5, 1, v5
	v_sub_u32_e32 v6, 0, v4
	v_min_i32_e32 v13, s17, v5
	v_ashrrev_i32_e32 v5, 31, v4
	v_max_i32_e32 v4, v4, v6
	v_mul_hi_u32 v6, v4, v10
	v_mul_lo_u32 v7, v6, s48
	v_sub_u32_e32 v4, v4, v7
	v_add_u32_e32 v7, 1, v6
	v_cmp_le_u32_e32 vcc, s48, v4
	v_cndmask_b32_e32 v6, v6, v7, vcc
	v_subrev_u32_e32 v7, s48, v4
	v_cndmask_b32_e32 v4, v4, v7, vcc
	v_add_u32_e32 v7, 1, v6
	v_cmp_le_u32_e32 vcc, s48, v4
	v_xor_b32_e32 v5, s50, v5
	v_cndmask_b32_e32 v4, v6, v7, vcc
	s_load_dword s55, s[10:11], 0x4
	v_xor_b32_e32 v4, v4, v5
	v_sub_u32_e32 v4, v4, v5
	v_add_u32_e32 v4, 1, v4
	v_min_i32_e32 v14, s16, v4
	v_add_u32_e32 v6, s52, v12
	v_cmp_lt_i32_e64 s[2:3], v12, v14
	v_cmp_lt_i32_e64 s[4:5], v2, v13
	v_ashrrev_i32_e32 v5, 31, v0
	v_mov_b32_e32 v4, v0
	v_mad_u64_u32 v[6:7], s[34:35], s17, v6, v[2:3]
	s_waitcnt lgkmcnt(0)
	s_mul_i32 s56, s54, s55
	s_mov_b32 s57, s7
	s_branch .LBB20_10
.LBB20_9:                               ;   in Loop: Header=BB20_10 Depth=2
	s_add_i32 s57, s55, s57
	s_cmp_ge_i32 s57, s12
	v_add_u32_e32 v6, s56, v6
	s_cbranch_scc1 .LBB20_2
.LBB20_10:                              ;   Parent Loop BB20_3 Depth=1
                                        ; =>  This Loop Header: Depth=2
                                        ;       Child Loop BB20_14 Depth 3
                                        ;         Child Loop BB20_18 Depth 4
                                        ;           Child Loop BB20_21 Depth 5
	s_andn2_b64 vcc, exec, s[18:19]
	s_cbranch_vccnz .LBB20_9
; %bb.11:                               ;   in Loop: Header=BB20_10 Depth=2
	s_load_dword s58, s[10:11], 0x8
	s_mul_i32 s59, s57, s13
	v_mov_b32_e32 v7, v6
	s_mov_b32 s61, s8
	s_waitcnt lgkmcnt(0)
	s_mul_i32 s60, s53, s58
	s_branch .LBB20_14
.LBB20_12:                              ;   in Loop: Header=BB20_14 Depth=3
	s_or_b64 exec, exec, s[36:37]
.LBB20_13:                              ;   in Loop: Header=BB20_14 Depth=3
	s_or_b64 exec, exec, s[34:35]
	s_add_i32 s34, s61, s59
	s_mul_i32 s34, s28, s34
	v_add_u32_e32 v8, s34, v0
	v_ashrrev_i32_e32 v9, 31, v8
	v_lshlrev_b64 v[8:9], 2, v[8:9]
	v_mov_b32_e32 v16, s31
	v_add_co_u32_e32 v8, vcc, s30, v8
	s_add_i32 s61, s58, s61
	v_addc_co_u32_e32 v9, vcc, v16, v9, vcc
	s_cmp_ge_i32 s61, s13
	v_add_u32_e32 v7, s60, v7
	global_store_dword v[8:9], v15, off
	s_cbranch_scc1 .LBB20_9
.LBB20_14:                              ;   Parent Loop BB20_3 Depth=1
                                        ;     Parent Loop BB20_10 Depth=2
                                        ; =>    This Loop Header: Depth=3
                                        ;         Child Loop BB20_18 Depth 4
                                        ;           Child Loop BB20_21 Depth 5
	v_mov_b32_e32 v15, 0
	s_and_saveexec_b64 s[34:35], s[2:3]
	s_cbranch_execz .LBB20_13
; %bb.15:                               ;   in Loop: Header=BB20_14 Depth=3
	s_mov_b64 s[36:37], 0
	v_mov_b32_e32 v15, 0
	v_mov_b32_e32 v16, v7
	;; [unrolled: 1-line block ×3, first 2 shown]
	s_branch .LBB20_18
.LBB20_16:                              ;   in Loop: Header=BB20_18 Depth=4
	s_or_b64 exec, exec, s[40:41]
.LBB20_17:                              ;   in Loop: Header=BB20_18 Depth=4
	s_or_b64 exec, exec, s[38:39]
	v_add_u32_e32 v17, 1, v17
	v_cmp_ge_i32_e32 vcc, v17, v14
	s_or_b64 s[36:37], vcc, s[36:37]
	v_add_u32_e32 v16, s17, v16
	s_andn2_b64 exec, exec, s[36:37]
	s_cbranch_execz .LBB20_12
.LBB20_18:                              ;   Parent Loop BB20_3 Depth=1
                                        ;     Parent Loop BB20_10 Depth=2
                                        ;       Parent Loop BB20_14 Depth=3
                                        ; =>      This Loop Header: Depth=4
                                        ;           Child Loop BB20_21 Depth 5
	s_and_saveexec_b64 s[38:39], s[4:5]
	s_cbranch_execz .LBB20_17
; %bb.19:                               ;   in Loop: Header=BB20_18 Depth=4
	s_mov_b64 s[40:41], 0
	v_mov_b32_e32 v8, v16
	v_mov_b32_e32 v18, v2
	s_branch .LBB20_21
.LBB20_20:                              ;   in Loop: Header=BB20_21 Depth=5
	s_or_b64 exec, exec, s[42:43]
	v_add_u32_e32 v18, 1, v18
	v_cmp_ge_i32_e32 vcc, v18, v13
	s_or_b64 s[40:41], vcc, s[40:41]
	v_add_u32_e32 v8, 1, v8
	s_andn2_b64 exec, exec, s[40:41]
	s_cbranch_execz .LBB20_16
.LBB20_21:                              ;   Parent Loop BB20_3 Depth=1
                                        ;     Parent Loop BB20_10 Depth=2
                                        ;       Parent Loop BB20_14 Depth=3
                                        ;         Parent Loop BB20_18 Depth=4
                                        ; =>        This Inner Loop Header: Depth=5
	v_ashrrev_i32_e32 v9, 31, v8
	v_lshlrev_b64 v[20:21], 3, v[8:9]
	v_mov_b32_e32 v19, s27
	v_add_co_u32_e32 v20, vcc, s26, v20
	v_addc_co_u32_e32 v21, vcc, v19, v21, vcc
	global_load_dwordx2 v[20:21], v[20:21], off
	s_waitcnt vmcnt(0)
	v_cmp_eq_u64_e32 vcc, v[20:21], v[4:5]
	s_and_saveexec_b64 s[42:43], vcc
	s_cbranch_execz .LBB20_20
; %bb.22:                               ;   in Loop: Header=BB20_21 Depth=5
	v_lshlrev_b64 v[20:21], 2, v[8:9]
	v_mov_b32_e32 v9, s25
	v_add_co_u32_e32 v20, vcc, s24, v20
	v_addc_co_u32_e32 v21, vcc, v9, v21, vcc
	global_load_dword v9, v[20:21], off
	s_waitcnt vmcnt(0)
	v_add_f32_e32 v15, v15, v9
	s_branch .LBB20_20
.LBB20_23:
	s_endpgm
	.section	.rodata,"a",@progbits
	.p2align	6, 0x0
	.amdhsa_kernel _ZN2at6native12_GLOBAL__N_122max_pool_backward_nchwIffiEEvPKT_PKlT1_S8_S8_S8_S8_S8_iiiiiiiiPS3_
		.amdhsa_group_segment_fixed_size 0
		.amdhsa_private_segment_fixed_size 0
		.amdhsa_kernarg_size 336
		.amdhsa_user_sgpr_count 6
		.amdhsa_user_sgpr_private_segment_buffer 1
		.amdhsa_user_sgpr_dispatch_ptr 0
		.amdhsa_user_sgpr_queue_ptr 0
		.amdhsa_user_sgpr_kernarg_segment_ptr 1
		.amdhsa_user_sgpr_dispatch_id 0
		.amdhsa_user_sgpr_flat_scratch_init 0
		.amdhsa_user_sgpr_kernarg_preload_length 0
		.amdhsa_user_sgpr_kernarg_preload_offset 0
		.amdhsa_user_sgpr_private_segment_size 0
		.amdhsa_uses_dynamic_stack 0
		.amdhsa_system_sgpr_private_segment_wavefront_offset 0
		.amdhsa_system_sgpr_workgroup_id_x 1
		.amdhsa_system_sgpr_workgroup_id_y 1
		.amdhsa_system_sgpr_workgroup_id_z 1
		.amdhsa_system_sgpr_workgroup_info 0
		.amdhsa_system_vgpr_workitem_id 0
		.amdhsa_next_free_vgpr 22
		.amdhsa_next_free_sgpr 62
		.amdhsa_accum_offset 24
		.amdhsa_reserve_vcc 1
		.amdhsa_reserve_flat_scratch 0
		.amdhsa_float_round_mode_32 0
		.amdhsa_float_round_mode_16_64 0
		.amdhsa_float_denorm_mode_32 3
		.amdhsa_float_denorm_mode_16_64 3
		.amdhsa_dx10_clamp 1
		.amdhsa_ieee_mode 1
		.amdhsa_fp16_overflow 0
		.amdhsa_tg_split 0
		.amdhsa_exception_fp_ieee_invalid_op 0
		.amdhsa_exception_fp_denorm_src 0
		.amdhsa_exception_fp_ieee_div_zero 0
		.amdhsa_exception_fp_ieee_overflow 0
		.amdhsa_exception_fp_ieee_underflow 0
		.amdhsa_exception_fp_ieee_inexact 0
		.amdhsa_exception_int_div_zero 0
	.end_amdhsa_kernel
	.section	.text._ZN2at6native12_GLOBAL__N_122max_pool_backward_nchwIffiEEvPKT_PKlT1_S8_S8_S8_S8_S8_iiiiiiiiPS3_,"axG",@progbits,_ZN2at6native12_GLOBAL__N_122max_pool_backward_nchwIffiEEvPKT_PKlT1_S8_S8_S8_S8_S8_iiiiiiiiPS3_,comdat
.Lfunc_end20:
	.size	_ZN2at6native12_GLOBAL__N_122max_pool_backward_nchwIffiEEvPKT_PKlT1_S8_S8_S8_S8_S8_iiiiiiiiPS3_, .Lfunc_end20-_ZN2at6native12_GLOBAL__N_122max_pool_backward_nchwIffiEEvPKT_PKlT1_S8_S8_S8_S8_S8_iiiiiiiiPS3_
                                        ; -- End function
	.section	.AMDGPU.csdata,"",@progbits
; Kernel info:
; codeLenInByte = 1260
; NumSgprs: 66
; NumVgprs: 22
; NumAgprs: 0
; TotalNumVgprs: 22
; ScratchSize: 0
; MemoryBound: 0
; FloatMode: 240
; IeeeMode: 1
; LDSByteSize: 0 bytes/workgroup (compile time only)
; SGPRBlocks: 8
; VGPRBlocks: 2
; NumSGPRsForWavesPerEU: 66
; NumVGPRsForWavesPerEU: 22
; AccumOffset: 24
; Occupancy: 8
; WaveLimiterHint : 0
; COMPUTE_PGM_RSRC2:SCRATCH_EN: 0
; COMPUTE_PGM_RSRC2:USER_SGPR: 6
; COMPUTE_PGM_RSRC2:TRAP_HANDLER: 0
; COMPUTE_PGM_RSRC2:TGID_X_EN: 1
; COMPUTE_PGM_RSRC2:TGID_Y_EN: 1
; COMPUTE_PGM_RSRC2:TGID_Z_EN: 1
; COMPUTE_PGM_RSRC2:TIDIG_COMP_CNT: 0
; COMPUTE_PGM_RSRC3_GFX90A:ACCUM_OFFSET: 5
; COMPUTE_PGM_RSRC3_GFX90A:TG_SPLIT: 0
	.section	.text._ZN2at6native12_GLOBAL__N_122max_pool_backward_nchwIfflEEvPKT_PKlT1_S8_S8_S8_S8_S8_iiiiiiiiPS3_,"axG",@progbits,_ZN2at6native12_GLOBAL__N_122max_pool_backward_nchwIfflEEvPKT_PKlT1_S8_S8_S8_S8_S8_iiiiiiiiPS3_,comdat
	.globl	_ZN2at6native12_GLOBAL__N_122max_pool_backward_nchwIfflEEvPKT_PKlT1_S8_S8_S8_S8_S8_iiiiiiiiPS3_ ; -- Begin function _ZN2at6native12_GLOBAL__N_122max_pool_backward_nchwIfflEEvPKT_PKlT1_S8_S8_S8_S8_S8_iiiiiiiiPS3_
	.p2align	8
	.type	_ZN2at6native12_GLOBAL__N_122max_pool_backward_nchwIfflEEvPKT_PKlT1_S8_S8_S8_S8_S8_iiiiiiiiPS3_,@function
_ZN2at6native12_GLOBAL__N_122max_pool_backward_nchwIfflEEvPKT_PKlT1_S8_S8_S8_S8_S8_iiiiiiiiPS3_: ; @_ZN2at6native12_GLOBAL__N_122max_pool_backward_nchwIfflEEvPKT_PKlT1_S8_S8_S8_S8_S8_iiiiiiiiPS3_
; %bb.0:
	s_load_dword s0, s[4:5], 0x74
	s_load_dwordx16 s[12:27], s[4:5], 0x0
	s_add_u32 s28, s4, 0x68
	v_mov_b32_e32 v2, 0
	s_mov_b32 s10, s7
	s_addc_u32 s29, s5, 0
	s_waitcnt lgkmcnt(0)
	s_and_b32 s7, s0, 0xffff
	v_mov_b32_e32 v1, v2
	v_mov_b32_e32 v3, s6
	v_mad_u64_u32 v[0:1], s[0:1], s7, v3, v[0:1]
	s_mul_i32 s0, s22, s21
	s_mul_hi_u32 s1, s22, s20
	s_add_i32 s0, s1, s0
	s_mul_i32 s1, s23, s20
	s_add_i32 s21, s0, s1
	s_mul_i32 s20, s22, s20
	v_cmp_gt_i64_e32 vcc, s[20:21], v[0:1]
	s_and_saveexec_b64 s[0:1], vcc
	s_cbranch_execz .LBB21_43
; %bb.1:
	s_load_dwordx8 s[36:43], s[4:5], 0x40
	s_load_dwordx2 s[30:31], s[4:5], 0x60
	s_load_dword s6, s[28:29], 0x0
	s_mul_i32 s4, s19, s10
	s_mul_hi_u32 s5, s18, s10
	s_waitcnt lgkmcnt(0)
	s_add_i32 s0, s36, -1
	s_mul_i32 s0, s0, s42
	s_add_i32 s34, s0, 1
	s_add_i32 s0, s37, -1
	s_mul_i32 s0, s0, s43
	s_add_i32 s36, s0, 1
	v_cvt_f32_u32_e32 v3, s22
	s_ashr_i32 s52, s40, 31
	s_ashr_i32 s35, s34, 31
	;; [unrolled: 1-line block ×6, first 2 shown]
	s_add_i32 s5, s5, s4
	s_mul_i32 s4, s18, s10
	s_add_u32 s4, s4, s8
	s_addc_u32 s5, s5, 0
	s_mul_i32 s72, s6, s7
	s_mul_i32 s5, s24, s5
	s_mul_hi_u32 s6, s24, s4
	v_rcp_iflag_f32_e32 v3, v3
	s_add_i32 s5, s6, s5
	s_mul_i32 s6, s25, s4
	s_add_i32 s74, s5, s6
	s_mul_i32 s75, s24, s4
	s_mul_i32 s4, s26, s25
	s_mul_hi_u32 s5, s26, s24
	s_add_i32 s4, s5, s4
	s_mul_i32 s5, s27, s24
	s_add_i32 s5, s4, s5
	s_mul_i32 s4, s26, s24
	v_mul_f32_e32 v3, 0x4f7ffffe, v3
	s_mul_i32 s6, s4, s19
	s_mul_hi_u32 s7, s4, s18
	v_cvt_u32_f32_e32 v32, v3
	s_mov_b32 s11, 0
	v_pk_mov_b32 v[4:5], s[16:17], s[16:17] op_sel:[0,1]
	s_add_i32 s6, s7, s6
	s_mul_i32 s7, s5, s18
	v_cmp_lt_i64_e64 s[0:1], s[10:11], v[4:5]
	s_mov_b32 s9, s11
	v_pk_mov_b32 v[4:5], s[18:19], s[18:19] op_sel:[0,1]
	s_add_i32 s7, s6, s7
	s_mul_i32 s6, s4, s18
	s_mov_b32 s33, s40
	s_mov_b32 s67, s38
	;; [unrolled: 1-line block ×4, first 2 shown]
	v_cmp_lt_i64_e64 s[2:3], s[8:9], v[4:5]
	s_mov_b32 s73, s11
	s_lshl_b64 s[38:39], s[6:7], 3
	s_lshl_b64 s[40:41], s[4:5], 3
	;; [unrolled: 1-line block ×6, first 2 shown]
	s_mov_b64 s[50:51], 0
	v_mov_b32_e32 v33, s52
	s_branch .LBB21_3
.LBB21_2:                               ;   in Loop: Header=BB21_3 Depth=1
	v_mov_b32_e32 v3, s73
	v_add_co_u32_e32 v0, vcc, s72, v0
	v_addc_co_u32_e32 v1, vcc, v1, v3, vcc
	v_cmp_le_i64_e32 vcc, s[20:21], v[0:1]
	s_or_b64 s[50:51], vcc, s[50:51]
	s_andn2_b64 exec, exec, s[50:51]
	s_cbranch_execz .LBB21_43
.LBB21_3:                               ; =>This Loop Header: Depth=1
                                        ;     Child Loop BB21_30 Depth 2
                                        ;       Child Loop BB21_34 Depth 3
                                        ;         Child Loop BB21_38 Depth 4
                                        ;           Child Loop BB21_41 Depth 5
	v_or_b32_e32 v3, s23, v1
	v_cmp_ne_u64_e32 vcc, 0, v[2:3]
                                        ; implicit-def: $vgpr6_vgpr7
	s_and_saveexec_b64 s[4:5], vcc
	s_xor_b64 s[6:7], exec, s[4:5]
	s_cbranch_execz .LBB21_5
; %bb.4:                                ;   in Loop: Header=BB21_3 Depth=1
	s_ashr_i32 s52, s23, 31
	s_add_u32 s4, s22, s52
	s_mov_b32 s53, s52
	s_addc_u32 s5, s23, s52
	s_xor_b64 s[54:55], s[4:5], s[52:53]
	v_cvt_f32_u32_e32 v3, s54
	v_cvt_f32_u32_e32 v4, s55
	s_sub_u32 s4, 0, s54
	s_subb_u32 s5, 0, s55
	v_mac_f32_e32 v3, 0x4f800000, v4
	v_rcp_f32_e32 v3, v3
	v_mul_f32_e32 v3, 0x5f7ffffc, v3
	v_mul_f32_e32 v4, 0x2f800000, v3
	v_trunc_f32_e32 v4, v4
	v_mac_f32_e32 v3, 0xcf800000, v4
	v_cvt_u32_f32_e32 v4, v4
	v_cvt_u32_f32_e32 v3, v3
	v_mul_lo_u32 v5, s4, v4
	v_mul_hi_u32 v7, s4, v3
	v_mul_lo_u32 v6, s5, v3
	v_add_u32_e32 v5, v7, v5
	v_mul_lo_u32 v8, s4, v3
	v_add_u32_e32 v5, v5, v6
	v_mul_lo_u32 v7, v3, v5
	v_mul_hi_u32 v9, v3, v8
	v_mul_hi_u32 v6, v3, v5
	v_add_co_u32_e32 v7, vcc, v9, v7
	v_addc_co_u32_e32 v6, vcc, 0, v6, vcc
	v_mul_hi_u32 v10, v4, v8
	v_mul_lo_u32 v8, v4, v8
	v_add_co_u32_e32 v7, vcc, v7, v8
	v_mul_hi_u32 v9, v4, v5
	v_addc_co_u32_e32 v6, vcc, v6, v10, vcc
	v_addc_co_u32_e32 v7, vcc, 0, v9, vcc
	v_mul_lo_u32 v5, v4, v5
	v_add_co_u32_e32 v5, vcc, v6, v5
	v_addc_co_u32_e32 v6, vcc, 0, v7, vcc
	v_add_co_u32_e32 v3, vcc, v3, v5
	v_addc_co_u32_e32 v4, vcc, v4, v6, vcc
	v_mul_lo_u32 v5, s4, v4
	v_mul_hi_u32 v6, s4, v3
	v_add_u32_e32 v5, v6, v5
	v_mul_lo_u32 v6, s5, v3
	v_add_u32_e32 v5, v5, v6
	v_mul_lo_u32 v7, s4, v3
	v_mul_hi_u32 v8, v4, v7
	v_mul_lo_u32 v9, v4, v7
	v_mul_lo_u32 v11, v3, v5
	v_mul_hi_u32 v7, v3, v7
	v_mul_hi_u32 v10, v3, v5
	v_add_co_u32_e32 v7, vcc, v7, v11
	v_addc_co_u32_e32 v10, vcc, 0, v10, vcc
	v_add_co_u32_e32 v7, vcc, v7, v9
	v_mul_hi_u32 v6, v4, v5
	v_addc_co_u32_e32 v7, vcc, v10, v8, vcc
	v_addc_co_u32_e32 v6, vcc, 0, v6, vcc
	v_mul_lo_u32 v5, v4, v5
	v_add_co_u32_e32 v5, vcc, v7, v5
	v_addc_co_u32_e32 v6, vcc, 0, v6, vcc
	v_add_co_u32_e32 v3, vcc, v3, v5
	v_addc_co_u32_e32 v6, vcc, v4, v6, vcc
	v_ashrrev_i32_e32 v8, 31, v1
	v_add_co_u32_e32 v4, vcc, v0, v8
	v_addc_co_u32_e32 v5, vcc, v1, v8, vcc
	v_xor_b32_e32 v10, v4, v8
	v_xor_b32_e32 v9, v5, v8
	v_mad_u64_u32 v[4:5], s[4:5], v10, v6, 0
	v_mul_hi_u32 v7, v10, v3
	v_add_co_u32_e32 v11, vcc, v7, v4
	v_addc_co_u32_e32 v12, vcc, 0, v5, vcc
	v_mad_u64_u32 v[4:5], s[4:5], v9, v6, 0
	v_mad_u64_u32 v[6:7], s[4:5], v9, v3, 0
	v_add_co_u32_e32 v3, vcc, v11, v6
	v_addc_co_u32_e32 v3, vcc, v12, v7, vcc
	v_addc_co_u32_e32 v5, vcc, 0, v5, vcc
	v_add_co_u32_e32 v3, vcc, v3, v4
	v_addc_co_u32_e32 v6, vcc, 0, v5, vcc
	v_mul_lo_u32 v7, s55, v3
	v_mul_lo_u32 v11, s54, v6
	v_mad_u64_u32 v[4:5], s[4:5], s54, v3, 0
	v_add3_u32 v5, v5, v11, v7
	v_sub_u32_e32 v7, v9, v5
	v_mov_b32_e32 v11, s55
	v_sub_co_u32_e32 v4, vcc, v10, v4
	v_subb_co_u32_e64 v7, s[4:5], v7, v11, vcc
	v_subrev_co_u32_e64 v10, s[4:5], s54, v4
	v_subbrev_co_u32_e64 v7, s[4:5], 0, v7, s[4:5]
	v_cmp_le_u32_e64 s[4:5], s55, v7
	v_cndmask_b32_e64 v11, 0, -1, s[4:5]
	v_cmp_le_u32_e64 s[4:5], s54, v10
	v_cndmask_b32_e64 v10, 0, -1, s[4:5]
	v_cmp_eq_u32_e64 s[4:5], s55, v7
	v_cndmask_b32_e64 v7, v11, v10, s[4:5]
	v_add_co_u32_e64 v10, s[4:5], 2, v3
	v_subb_co_u32_e32 v5, vcc, v9, v5, vcc
	v_addc_co_u32_e64 v11, s[4:5], 0, v6, s[4:5]
	v_cmp_le_u32_e32 vcc, s55, v5
	v_add_co_u32_e64 v12, s[4:5], 1, v3
	v_cndmask_b32_e64 v9, 0, -1, vcc
	v_cmp_le_u32_e32 vcc, s54, v4
	v_addc_co_u32_e64 v13, s[4:5], 0, v6, s[4:5]
	v_cndmask_b32_e64 v4, 0, -1, vcc
	v_cmp_eq_u32_e32 vcc, s55, v5
	v_cmp_ne_u32_e64 s[4:5], 0, v7
	v_cndmask_b32_e32 v4, v9, v4, vcc
	v_cmp_ne_u32_e32 vcc, 0, v4
	v_cndmask_b32_e64 v5, v12, v10, s[4:5]
	v_cndmask_b32_e64 v7, v13, v11, s[4:5]
	v_cndmask_b32_e32 v3, v3, v5, vcc
	v_xor_b32_e32 v5, s52, v8
	v_cndmask_b32_e32 v4, v6, v7, vcc
	v_xor_b32_e32 v3, v3, v5
	v_xor_b32_e32 v4, v4, v5
	v_sub_co_u32_e32 v6, vcc, v3, v5
	v_subb_co_u32_e32 v7, vcc, v4, v5, vcc
.LBB21_5:                               ;   in Loop: Header=BB21_3 Depth=1
	s_andn2_saveexec_b64 s[4:5], s[6:7]
	s_cbranch_execz .LBB21_7
; %bb.6:                                ;   in Loop: Header=BB21_3 Depth=1
	s_sub_i32 s6, 0, s22
	v_mul_lo_u32 v3, s6, v32
	v_mul_hi_u32 v3, v32, v3
	v_add_u32_e32 v3, v32, v3
	v_mul_hi_u32 v3, v0, v3
	v_mul_lo_u32 v4, v3, s22
	v_sub_u32_e32 v4, v0, v4
	v_subrev_u32_e32 v5, s22, v4
	v_cmp_le_u32_e32 vcc, s22, v4
	v_cndmask_b32_e32 v4, v4, v5, vcc
	v_add_u32_e32 v5, 1, v3
	v_cndmask_b32_e32 v3, v3, v5, vcc
	v_add_u32_e32 v5, 1, v3
	v_cmp_le_u32_e32 vcc, s22, v4
	v_cndmask_b32_e32 v6, v3, v5, vcc
	v_mov_b32_e32 v7, v2
.LBB21_7:                               ;   in Loop: Header=BB21_3 Depth=1
	s_or_b64 exec, exec, s[4:5]
	v_add_co_u32_e32 v10, vcc, s33, v6
	v_addc_co_u32_e32 v11, vcc, v7, v33, vcc
	v_cmp_le_i64_e32 vcc, s[34:35], v[10:11]
	v_pk_mov_b32 v[4:5], 0, 0
	s_and_saveexec_b64 s[6:7], vcc
	s_cbranch_execz .LBB21_13
; %bb.8:                                ;   in Loop: Header=BB21_3 Depth=1
	v_mov_b32_e32 v3, s35
	v_subrev_co_u32_e32 v8, vcc, s34, v10
	v_subb_co_u32_e32 v9, vcc, v11, v3, vcc
	v_or_b32_e32 v3, s66, v9
	v_cmp_ne_u64_e32 vcc, 0, v[2:3]
                                        ; implicit-def: $vgpr4_vgpr5
	s_and_saveexec_b64 s[4:5], vcc
	s_xor_b64 s[52:53], exec, s[4:5]
	s_cbranch_execz .LBB21_10
; %bb.9:                                ;   in Loop: Header=BB21_3 Depth=1
	s_add_u32 s4, s67, s66
	s_mov_b32 s54, s66
	s_mov_b32 s55, s66
	s_addc_u32 s5, s66, s66
	s_xor_b64 s[56:57], s[4:5], s[54:55]
	v_cvt_f32_u32_e32 v3, s56
	v_cvt_f32_u32_e32 v4, s57
	s_sub_u32 s4, 0, s56
	s_subb_u32 s5, 0, s57
	v_mac_f32_e32 v3, 0x4f800000, v4
	v_rcp_f32_e32 v3, v3
	v_mul_f32_e32 v3, 0x5f7ffffc, v3
	v_mul_f32_e32 v4, 0x2f800000, v3
	v_trunc_f32_e32 v4, v4
	v_mac_f32_e32 v3, 0xcf800000, v4
	v_cvt_u32_f32_e32 v4, v4
	v_cvt_u32_f32_e32 v3, v3
	v_mul_lo_u32 v5, s4, v4
	v_mul_hi_u32 v13, s4, v3
	v_mul_lo_u32 v12, s5, v3
	v_add_u32_e32 v5, v13, v5
	v_mul_lo_u32 v14, s4, v3
	v_add_u32_e32 v5, v5, v12
	v_mul_lo_u32 v13, v3, v5
	v_mul_hi_u32 v15, v3, v14
	v_mul_hi_u32 v12, v3, v5
	v_add_co_u32_e32 v13, vcc, v15, v13
	v_addc_co_u32_e32 v12, vcc, 0, v12, vcc
	v_mul_hi_u32 v16, v4, v14
	v_mul_lo_u32 v14, v4, v14
	v_add_co_u32_e32 v13, vcc, v13, v14
	v_mul_hi_u32 v15, v4, v5
	v_addc_co_u32_e32 v12, vcc, v12, v16, vcc
	v_addc_co_u32_e32 v13, vcc, 0, v15, vcc
	v_mul_lo_u32 v5, v4, v5
	v_add_co_u32_e32 v5, vcc, v12, v5
	v_addc_co_u32_e32 v12, vcc, 0, v13, vcc
	v_add_co_u32_e32 v3, vcc, v3, v5
	v_addc_co_u32_e32 v4, vcc, v4, v12, vcc
	v_mul_lo_u32 v5, s4, v4
	v_mul_hi_u32 v12, s4, v3
	v_add_u32_e32 v5, v12, v5
	v_mul_lo_u32 v12, s5, v3
	v_add_u32_e32 v5, v5, v12
	v_mul_lo_u32 v13, s4, v3
	v_mul_hi_u32 v14, v4, v13
	v_mul_lo_u32 v15, v4, v13
	v_mul_lo_u32 v17, v3, v5
	v_mul_hi_u32 v13, v3, v13
	v_mul_hi_u32 v16, v3, v5
	v_add_co_u32_e32 v13, vcc, v13, v17
	v_addc_co_u32_e32 v16, vcc, 0, v16, vcc
	v_add_co_u32_e32 v13, vcc, v13, v15
	v_mul_hi_u32 v12, v4, v5
	v_addc_co_u32_e32 v13, vcc, v16, v14, vcc
	v_addc_co_u32_e32 v12, vcc, 0, v12, vcc
	v_mul_lo_u32 v5, v4, v5
	v_add_co_u32_e32 v5, vcc, v13, v5
	v_addc_co_u32_e32 v12, vcc, 0, v12, vcc
	v_add_co_u32_e32 v3, vcc, v3, v5
	v_addc_co_u32_e32 v12, vcc, v4, v12, vcc
	v_ashrrev_i32_e32 v13, 31, v9
	v_add_co_u32_e32 v4, vcc, v8, v13
	v_addc_co_u32_e32 v5, vcc, v9, v13, vcc
	v_xor_b32_e32 v15, v4, v13
	v_xor_b32_e32 v14, v5, v13
	v_mad_u64_u32 v[4:5], s[4:5], v15, v12, 0
	v_mul_hi_u32 v8, v15, v3
	v_add_co_u32_e32 v16, vcc, v8, v4
	v_addc_co_u32_e32 v17, vcc, 0, v5, vcc
	v_mad_u64_u32 v[8:9], s[4:5], v14, v3, 0
	v_add_co_u32_e32 v3, vcc, v16, v8
	v_mad_u64_u32 v[4:5], s[4:5], v14, v12, 0
	v_addc_co_u32_e32 v3, vcc, v17, v9, vcc
	v_addc_co_u32_e32 v5, vcc, 0, v5, vcc
	v_add_co_u32_e32 v3, vcc, v3, v4
	v_addc_co_u32_e32 v8, vcc, 0, v5, vcc
	v_mul_lo_u32 v9, s57, v3
	v_mul_lo_u32 v12, s56, v8
	v_mad_u64_u32 v[4:5], s[4:5], s56, v3, 0
	v_add3_u32 v5, v5, v12, v9
	v_sub_u32_e32 v9, v14, v5
	v_mov_b32_e32 v12, s57
	v_sub_co_u32_e32 v4, vcc, v15, v4
	v_subb_co_u32_e64 v9, s[4:5], v9, v12, vcc
	v_subrev_co_u32_e64 v12, s[4:5], s56, v4
	v_subbrev_co_u32_e64 v9, s[4:5], 0, v9, s[4:5]
	v_cmp_le_u32_e64 s[4:5], s57, v9
	v_cndmask_b32_e64 v15, 0, -1, s[4:5]
	v_cmp_le_u32_e64 s[4:5], s56, v12
	v_cndmask_b32_e64 v12, 0, -1, s[4:5]
	v_cmp_eq_u32_e64 s[4:5], s57, v9
	v_cndmask_b32_e64 v9, v15, v12, s[4:5]
	v_add_co_u32_e64 v12, s[4:5], 2, v3
	v_subb_co_u32_e32 v5, vcc, v14, v5, vcc
	v_addc_co_u32_e64 v15, s[4:5], 0, v8, s[4:5]
	v_cmp_le_u32_e32 vcc, s57, v5
	v_add_co_u32_e64 v16, s[4:5], 1, v3
	v_cndmask_b32_e64 v14, 0, -1, vcc
	v_cmp_le_u32_e32 vcc, s56, v4
	v_addc_co_u32_e64 v17, s[4:5], 0, v8, s[4:5]
	v_cndmask_b32_e64 v4, 0, -1, vcc
	v_cmp_eq_u32_e32 vcc, s57, v5
	v_cmp_ne_u32_e64 s[4:5], 0, v9
	v_cndmask_b32_e32 v4, v14, v4, vcc
	v_cndmask_b32_e64 v9, v17, v15, s[4:5]
	v_cmp_ne_u32_e32 vcc, 0, v4
	v_cndmask_b32_e64 v5, v16, v12, s[4:5]
	v_cndmask_b32_e32 v4, v8, v9, vcc
	v_cndmask_b32_e32 v3, v3, v5, vcc
	v_xor_b32_e32 v8, s54, v13
	v_xor_b32_e32 v5, s55, v13
	;; [unrolled: 1-line block ×4, first 2 shown]
	v_sub_co_u32_e32 v4, vcc, v3, v8
	v_subb_co_u32_e32 v5, vcc, v9, v5, vcc
                                        ; implicit-def: $vgpr8
.LBB21_10:                              ;   in Loop: Header=BB21_3 Depth=1
	s_andn2_saveexec_b64 s[4:5], s[52:53]
	s_cbranch_execz .LBB21_12
; %bb.11:                               ;   in Loop: Header=BB21_3 Depth=1
	v_cvt_f32_u32_e32 v3, s67
	s_sub_i32 s52, 0, s67
	v_rcp_iflag_f32_e32 v3, v3
	v_mul_f32_e32 v3, 0x4f7ffffe, v3
	v_cvt_u32_f32_e32 v3, v3
	v_mul_lo_u32 v4, s52, v3
	v_mul_hi_u32 v4, v3, v4
	v_add_u32_e32 v3, v3, v4
	v_mul_hi_u32 v3, v8, v3
	v_mul_lo_u32 v4, v3, s67
	v_sub_u32_e32 v4, v8, v4
	v_add_u32_e32 v5, 1, v3
	v_subrev_u32_e32 v8, s67, v4
	v_cmp_le_u32_e32 vcc, s67, v4
	v_cndmask_b32_e32 v4, v4, v8, vcc
	v_cndmask_b32_e32 v3, v3, v5, vcc
	v_add_u32_e32 v5, 1, v3
	v_cmp_le_u32_e32 vcc, s67, v4
	v_cndmask_b32_e32 v4, v3, v5, vcc
	v_mov_b32_e32 v5, v2
.LBB21_12:                              ;   in Loop: Header=BB21_3 Depth=1
	s_or_b64 exec, exec, s[4:5]
	v_add_co_u32_e32 v4, vcc, 1, v4
	v_addc_co_u32_e32 v5, vcc, 0, v5, vcc
.LBB21_13:                              ;   in Loop: Header=BB21_3 Depth=1
	s_or_b64 exec, exec, s[6:7]
	v_or_b32_e32 v3, s66, v11
	v_cmp_ne_u64_e32 vcc, 0, v[2:3]
                                        ; implicit-def: $vgpr8_vgpr9
	s_and_saveexec_b64 s[4:5], vcc
	s_xor_b64 s[6:7], exec, s[4:5]
	s_cbranch_execz .LBB21_15
; %bb.14:                               ;   in Loop: Header=BB21_3 Depth=1
	s_add_u32 s4, s67, s66
	s_mov_b32 s52, s66
	s_mov_b32 s53, s66
	s_addc_u32 s5, s66, s66
	s_xor_b64 s[54:55], s[4:5], s[52:53]
	v_cvt_f32_u32_e32 v3, s54
	v_cvt_f32_u32_e32 v8, s55
	s_sub_u32 s4, 0, s54
	s_subb_u32 s5, 0, s55
	v_mac_f32_e32 v3, 0x4f800000, v8
	v_rcp_f32_e32 v3, v3
	v_mul_f32_e32 v3, 0x5f7ffffc, v3
	v_mul_f32_e32 v8, 0x2f800000, v3
	v_trunc_f32_e32 v8, v8
	v_mac_f32_e32 v3, 0xcf800000, v8
	v_cvt_u32_f32_e32 v8, v8
	v_cvt_u32_f32_e32 v3, v3
	v_mul_lo_u32 v9, s4, v8
	v_mul_hi_u32 v13, s4, v3
	v_mul_lo_u32 v12, s5, v3
	v_add_u32_e32 v9, v13, v9
	v_mul_lo_u32 v14, s4, v3
	v_add_u32_e32 v9, v9, v12
	v_mul_lo_u32 v13, v3, v9
	v_mul_hi_u32 v15, v3, v14
	v_mul_hi_u32 v12, v3, v9
	v_add_co_u32_e32 v13, vcc, v15, v13
	v_addc_co_u32_e32 v12, vcc, 0, v12, vcc
	v_mul_hi_u32 v16, v8, v14
	v_mul_lo_u32 v14, v8, v14
	v_add_co_u32_e32 v13, vcc, v13, v14
	v_mul_hi_u32 v15, v8, v9
	v_addc_co_u32_e32 v12, vcc, v12, v16, vcc
	v_addc_co_u32_e32 v13, vcc, 0, v15, vcc
	v_mul_lo_u32 v9, v8, v9
	v_add_co_u32_e32 v9, vcc, v12, v9
	v_addc_co_u32_e32 v12, vcc, 0, v13, vcc
	v_add_co_u32_e32 v3, vcc, v3, v9
	v_addc_co_u32_e32 v8, vcc, v8, v12, vcc
	v_mul_lo_u32 v9, s4, v8
	v_mul_hi_u32 v12, s4, v3
	v_add_u32_e32 v9, v12, v9
	v_mul_lo_u32 v12, s5, v3
	v_add_u32_e32 v9, v9, v12
	v_mul_lo_u32 v13, s4, v3
	v_mul_hi_u32 v14, v8, v13
	v_mul_lo_u32 v15, v8, v13
	v_mul_lo_u32 v17, v3, v9
	v_mul_hi_u32 v13, v3, v13
	v_mul_hi_u32 v16, v3, v9
	v_add_co_u32_e32 v13, vcc, v13, v17
	v_addc_co_u32_e32 v16, vcc, 0, v16, vcc
	v_add_co_u32_e32 v13, vcc, v13, v15
	v_mul_hi_u32 v12, v8, v9
	v_addc_co_u32_e32 v13, vcc, v16, v14, vcc
	v_addc_co_u32_e32 v12, vcc, 0, v12, vcc
	v_mul_lo_u32 v9, v8, v9
	v_add_co_u32_e32 v9, vcc, v13, v9
	v_addc_co_u32_e32 v12, vcc, 0, v12, vcc
	v_add_co_u32_e32 v3, vcc, v3, v9
	v_addc_co_u32_e32 v12, vcc, v8, v12, vcc
	v_ashrrev_i32_e32 v13, 31, v11
	v_add_co_u32_e32 v8, vcc, v10, v13
	v_addc_co_u32_e32 v9, vcc, v11, v13, vcc
	v_xor_b32_e32 v15, v8, v13
	v_xor_b32_e32 v14, v9, v13
	v_mad_u64_u32 v[8:9], s[4:5], v15, v12, 0
	v_mul_hi_u32 v10, v15, v3
	v_add_co_u32_e32 v16, vcc, v10, v8
	v_addc_co_u32_e32 v17, vcc, 0, v9, vcc
	v_mad_u64_u32 v[10:11], s[4:5], v14, v3, 0
	v_add_co_u32_e32 v3, vcc, v16, v10
	v_mad_u64_u32 v[8:9], s[4:5], v14, v12, 0
	v_addc_co_u32_e32 v3, vcc, v17, v11, vcc
	v_addc_co_u32_e32 v9, vcc, 0, v9, vcc
	v_add_co_u32_e32 v3, vcc, v3, v8
	v_addc_co_u32_e32 v10, vcc, 0, v9, vcc
	v_mul_lo_u32 v11, s55, v3
	v_mul_lo_u32 v12, s54, v10
	v_mad_u64_u32 v[8:9], s[4:5], s54, v3, 0
	v_add3_u32 v9, v9, v12, v11
	v_sub_u32_e32 v11, v14, v9
	v_mov_b32_e32 v12, s55
	v_sub_co_u32_e32 v8, vcc, v15, v8
	v_subb_co_u32_e64 v11, s[4:5], v11, v12, vcc
	v_subrev_co_u32_e64 v12, s[4:5], s54, v8
	v_subbrev_co_u32_e64 v11, s[4:5], 0, v11, s[4:5]
	v_cmp_le_u32_e64 s[4:5], s55, v11
	v_cndmask_b32_e64 v15, 0, -1, s[4:5]
	v_cmp_le_u32_e64 s[4:5], s54, v12
	v_cndmask_b32_e64 v12, 0, -1, s[4:5]
	v_cmp_eq_u32_e64 s[4:5], s55, v11
	v_cndmask_b32_e64 v11, v15, v12, s[4:5]
	v_add_co_u32_e64 v12, s[4:5], 2, v3
	v_subb_co_u32_e32 v9, vcc, v14, v9, vcc
	v_addc_co_u32_e64 v15, s[4:5], 0, v10, s[4:5]
	v_cmp_le_u32_e32 vcc, s55, v9
	v_add_co_u32_e64 v16, s[4:5], 1, v3
	v_cndmask_b32_e64 v14, 0, -1, vcc
	v_cmp_le_u32_e32 vcc, s54, v8
	v_addc_co_u32_e64 v17, s[4:5], 0, v10, s[4:5]
	v_cndmask_b32_e64 v8, 0, -1, vcc
	v_cmp_eq_u32_e32 vcc, s55, v9
	v_cmp_ne_u32_e64 s[4:5], 0, v11
	v_cndmask_b32_e32 v8, v14, v8, vcc
	v_cndmask_b32_e64 v11, v17, v15, s[4:5]
	v_cmp_ne_u32_e32 vcc, 0, v8
	v_cndmask_b32_e64 v9, v16, v12, s[4:5]
	v_cndmask_b32_e32 v8, v10, v11, vcc
	v_cndmask_b32_e32 v3, v3, v9, vcc
	v_xor_b32_e32 v10, s52, v13
	v_xor_b32_e32 v9, s53, v13
	;; [unrolled: 1-line block ×4, first 2 shown]
	v_sub_co_u32_e32 v8, vcc, v3, v10
	v_subb_co_u32_e32 v9, vcc, v11, v9, vcc
                                        ; implicit-def: $vgpr10
.LBB21_15:                              ;   in Loop: Header=BB21_3 Depth=1
	s_andn2_saveexec_b64 s[4:5], s[6:7]
	s_cbranch_execz .LBB21_17
; %bb.16:                               ;   in Loop: Header=BB21_3 Depth=1
	v_cvt_f32_u32_e32 v3, s67
	s_sub_i32 s6, 0, s67
	v_rcp_iflag_f32_e32 v3, v3
	v_mul_f32_e32 v3, 0x4f7ffffe, v3
	v_cvt_u32_f32_e32 v3, v3
	v_mul_lo_u32 v8, s6, v3
	v_mul_hi_u32 v8, v3, v8
	v_add_u32_e32 v3, v3, v8
	v_mul_hi_u32 v3, v10, v3
	v_mul_lo_u32 v8, v3, s67
	v_sub_u32_e32 v8, v10, v8
	v_add_u32_e32 v9, 1, v3
	v_subrev_u32_e32 v10, s67, v8
	v_cmp_le_u32_e32 vcc, s67, v8
	v_cndmask_b32_e32 v8, v8, v10, vcc
	v_cndmask_b32_e32 v3, v3, v9, vcc
	v_add_u32_e32 v9, 1, v3
	v_cmp_le_u32_e32 vcc, s67, v8
	v_cndmask_b32_e32 v8, v3, v9, vcc
	v_mov_b32_e32 v9, v2
.LBB21_17:                              ;   in Loop: Header=BB21_3 Depth=1
	s_or_b64 exec, exec, s[4:5]
	v_mul_lo_u32 v3, v7, s22
	v_mul_lo_u32 v10, v6, s23
	v_mad_u64_u32 v[6:7], s[4:5], v6, s22, 0
	v_add3_u32 v3, v7, v10, v3
	v_sub_co_u32_e32 v6, vcc, v0, v6
	v_subb_co_u32_e32 v3, vcc, v1, v3, vcc
	v_mov_b32_e32 v7, s68
	v_add_co_u32_e32 v10, vcc, s69, v6
	v_addc_co_u32_e32 v11, vcc, v3, v7, vcc
	v_cmp_le_i64_e32 vcc, s[36:37], v[10:11]
	v_pk_mov_b32 v[6:7], 0, 0
	s_and_saveexec_b64 s[6:7], vcc
	s_cbranch_execz .LBB21_23
; %bb.18:                               ;   in Loop: Header=BB21_3 Depth=1
	v_mov_b32_e32 v3, s37
	v_subrev_co_u32_e32 v12, vcc, s36, v10
	v_subb_co_u32_e32 v13, vcc, v11, v3, vcc
	v_or_b32_e32 v3, s70, v13
	v_cmp_ne_u64_e32 vcc, 0, v[2:3]
                                        ; implicit-def: $vgpr6_vgpr7
	s_and_saveexec_b64 s[4:5], vcc
	s_xor_b64 s[52:53], exec, s[4:5]
	s_cbranch_execz .LBB21_20
; %bb.19:                               ;   in Loop: Header=BB21_3 Depth=1
	s_add_u32 s4, s71, s70
	s_mov_b32 s54, s70
	s_mov_b32 s55, s70
	s_addc_u32 s5, s70, s70
	s_xor_b64 s[56:57], s[4:5], s[54:55]
	v_cvt_f32_u32_e32 v3, s56
	v_cvt_f32_u32_e32 v6, s57
	s_sub_u32 s4, 0, s56
	s_subb_u32 s5, 0, s57
	v_mac_f32_e32 v3, 0x4f800000, v6
	v_rcp_f32_e32 v3, v3
	v_mul_f32_e32 v3, 0x5f7ffffc, v3
	v_mul_f32_e32 v6, 0x2f800000, v3
	v_trunc_f32_e32 v6, v6
	v_mac_f32_e32 v3, 0xcf800000, v6
	v_cvt_u32_f32_e32 v6, v6
	v_cvt_u32_f32_e32 v3, v3
	v_mul_lo_u32 v7, s4, v6
	v_mul_hi_u32 v15, s4, v3
	v_mul_lo_u32 v14, s5, v3
	v_add_u32_e32 v7, v15, v7
	v_mul_lo_u32 v16, s4, v3
	v_add_u32_e32 v7, v7, v14
	v_mul_lo_u32 v15, v3, v7
	v_mul_hi_u32 v17, v3, v16
	v_mul_hi_u32 v14, v3, v7
	v_add_co_u32_e32 v15, vcc, v17, v15
	v_addc_co_u32_e32 v14, vcc, 0, v14, vcc
	v_mul_hi_u32 v18, v6, v16
	v_mul_lo_u32 v16, v6, v16
	v_add_co_u32_e32 v15, vcc, v15, v16
	v_mul_hi_u32 v17, v6, v7
	v_addc_co_u32_e32 v14, vcc, v14, v18, vcc
	v_addc_co_u32_e32 v15, vcc, 0, v17, vcc
	v_mul_lo_u32 v7, v6, v7
	v_add_co_u32_e32 v7, vcc, v14, v7
	v_addc_co_u32_e32 v14, vcc, 0, v15, vcc
	v_add_co_u32_e32 v3, vcc, v3, v7
	v_addc_co_u32_e32 v6, vcc, v6, v14, vcc
	v_mul_lo_u32 v7, s4, v6
	v_mul_hi_u32 v14, s4, v3
	v_add_u32_e32 v7, v14, v7
	v_mul_lo_u32 v14, s5, v3
	v_add_u32_e32 v7, v7, v14
	v_mul_lo_u32 v15, s4, v3
	v_mul_hi_u32 v16, v6, v15
	v_mul_lo_u32 v17, v6, v15
	v_mul_lo_u32 v19, v3, v7
	v_mul_hi_u32 v15, v3, v15
	v_mul_hi_u32 v18, v3, v7
	v_add_co_u32_e32 v15, vcc, v15, v19
	v_addc_co_u32_e32 v18, vcc, 0, v18, vcc
	v_add_co_u32_e32 v15, vcc, v15, v17
	v_mul_hi_u32 v14, v6, v7
	v_addc_co_u32_e32 v15, vcc, v18, v16, vcc
	v_addc_co_u32_e32 v14, vcc, 0, v14, vcc
	v_mul_lo_u32 v7, v6, v7
	v_add_co_u32_e32 v7, vcc, v15, v7
	v_addc_co_u32_e32 v14, vcc, 0, v14, vcc
	v_add_co_u32_e32 v3, vcc, v3, v7
	v_addc_co_u32_e32 v14, vcc, v6, v14, vcc
	v_ashrrev_i32_e32 v15, 31, v13
	v_add_co_u32_e32 v6, vcc, v12, v15
	v_addc_co_u32_e32 v7, vcc, v13, v15, vcc
	v_xor_b32_e32 v17, v6, v15
	v_xor_b32_e32 v16, v7, v15
	v_mad_u64_u32 v[6:7], s[4:5], v17, v14, 0
	v_mul_hi_u32 v12, v17, v3
	v_add_co_u32_e32 v18, vcc, v12, v6
	v_addc_co_u32_e32 v19, vcc, 0, v7, vcc
	v_mad_u64_u32 v[12:13], s[4:5], v16, v3, 0
	v_add_co_u32_e32 v3, vcc, v18, v12
	v_mad_u64_u32 v[6:7], s[4:5], v16, v14, 0
	v_addc_co_u32_e32 v3, vcc, v19, v13, vcc
	v_addc_co_u32_e32 v7, vcc, 0, v7, vcc
	v_add_co_u32_e32 v3, vcc, v3, v6
	v_addc_co_u32_e32 v12, vcc, 0, v7, vcc
	v_mul_lo_u32 v13, s57, v3
	v_mul_lo_u32 v14, s56, v12
	v_mad_u64_u32 v[6:7], s[4:5], s56, v3, 0
	v_add3_u32 v7, v7, v14, v13
	v_sub_u32_e32 v13, v16, v7
	v_mov_b32_e32 v14, s57
	v_sub_co_u32_e32 v6, vcc, v17, v6
	v_subb_co_u32_e64 v13, s[4:5], v13, v14, vcc
	v_subrev_co_u32_e64 v14, s[4:5], s56, v6
	v_subbrev_co_u32_e64 v13, s[4:5], 0, v13, s[4:5]
	v_cmp_le_u32_e64 s[4:5], s57, v13
	v_cndmask_b32_e64 v17, 0, -1, s[4:5]
	v_cmp_le_u32_e64 s[4:5], s56, v14
	v_cndmask_b32_e64 v14, 0, -1, s[4:5]
	v_cmp_eq_u32_e64 s[4:5], s57, v13
	v_cndmask_b32_e64 v13, v17, v14, s[4:5]
	v_add_co_u32_e64 v14, s[4:5], 2, v3
	v_subb_co_u32_e32 v7, vcc, v16, v7, vcc
	v_addc_co_u32_e64 v17, s[4:5], 0, v12, s[4:5]
	v_cmp_le_u32_e32 vcc, s57, v7
	v_add_co_u32_e64 v18, s[4:5], 1, v3
	v_cndmask_b32_e64 v16, 0, -1, vcc
	v_cmp_le_u32_e32 vcc, s56, v6
	v_addc_co_u32_e64 v19, s[4:5], 0, v12, s[4:5]
	v_cndmask_b32_e64 v6, 0, -1, vcc
	v_cmp_eq_u32_e32 vcc, s57, v7
	v_cmp_ne_u32_e64 s[4:5], 0, v13
	v_cndmask_b32_e32 v6, v16, v6, vcc
	v_cndmask_b32_e64 v13, v19, v17, s[4:5]
	v_cmp_ne_u32_e32 vcc, 0, v6
	v_cndmask_b32_e64 v7, v18, v14, s[4:5]
	v_cndmask_b32_e32 v6, v12, v13, vcc
	v_cndmask_b32_e32 v3, v3, v7, vcc
	v_xor_b32_e32 v12, s54, v15
	v_xor_b32_e32 v7, s55, v15
	;; [unrolled: 1-line block ×4, first 2 shown]
	v_sub_co_u32_e32 v6, vcc, v3, v12
	v_subb_co_u32_e32 v7, vcc, v13, v7, vcc
                                        ; implicit-def: $vgpr12
.LBB21_20:                              ;   in Loop: Header=BB21_3 Depth=1
	s_andn2_saveexec_b64 s[4:5], s[52:53]
	s_cbranch_execz .LBB21_22
; %bb.21:                               ;   in Loop: Header=BB21_3 Depth=1
	v_cvt_f32_u32_e32 v3, s71
	s_sub_i32 s52, 0, s71
	v_rcp_iflag_f32_e32 v3, v3
	v_mul_f32_e32 v3, 0x4f7ffffe, v3
	v_cvt_u32_f32_e32 v3, v3
	v_mul_lo_u32 v6, s52, v3
	v_mul_hi_u32 v6, v3, v6
	v_add_u32_e32 v3, v3, v6
	v_mul_hi_u32 v3, v12, v3
	v_mul_lo_u32 v6, v3, s71
	v_sub_u32_e32 v6, v12, v6
	v_add_u32_e32 v7, 1, v3
	v_subrev_u32_e32 v12, s71, v6
	v_cmp_le_u32_e32 vcc, s71, v6
	v_cndmask_b32_e32 v6, v6, v12, vcc
	v_cndmask_b32_e32 v3, v3, v7, vcc
	v_add_u32_e32 v7, 1, v3
	v_cmp_le_u32_e32 vcc, s71, v6
	v_cndmask_b32_e32 v6, v3, v7, vcc
	v_mov_b32_e32 v7, v2
.LBB21_22:                              ;   in Loop: Header=BB21_3 Depth=1
	s_or_b64 exec, exec, s[4:5]
	v_add_co_u32_e32 v6, vcc, 1, v6
	v_addc_co_u32_e32 v7, vcc, 0, v7, vcc
.LBB21_23:                              ;   in Loop: Header=BB21_3 Depth=1
	s_or_b64 exec, exec, s[6:7]
	v_or_b32_e32 v3, s70, v11
	v_cmp_ne_u64_e32 vcc, 0, v[2:3]
                                        ; implicit-def: $vgpr12_vgpr13
	s_and_saveexec_b64 s[4:5], vcc
	s_xor_b64 s[6:7], exec, s[4:5]
	s_cbranch_execnz .LBB21_26
; %bb.24:                               ;   in Loop: Header=BB21_3 Depth=1
	s_andn2_saveexec_b64 s[4:5], s[6:7]
	s_cbranch_execnz .LBB21_27
.LBB21_25:                              ;   in Loop: Header=BB21_3 Depth=1
	s_or_b64 exec, exec, s[4:5]
	s_andn2_b64 vcc, exec, s[0:1]
	s_cbranch_vccnz .LBB21_2
	s_branch .LBB21_28
.LBB21_26:                              ;   in Loop: Header=BB21_3 Depth=1
	s_add_u32 s4, s71, s70
	s_mov_b32 s52, s70
	s_mov_b32 s53, s70
	s_addc_u32 s5, s70, s70
	s_xor_b64 s[54:55], s[4:5], s[52:53]
	v_cvt_f32_u32_e32 v3, s54
	v_cvt_f32_u32_e32 v12, s55
	s_sub_u32 s4, 0, s54
	s_subb_u32 s5, 0, s55
	v_mac_f32_e32 v3, 0x4f800000, v12
	v_rcp_f32_e32 v3, v3
	v_mul_f32_e32 v3, 0x5f7ffffc, v3
	v_mul_f32_e32 v12, 0x2f800000, v3
	v_trunc_f32_e32 v12, v12
	v_mac_f32_e32 v3, 0xcf800000, v12
	v_cvt_u32_f32_e32 v12, v12
	v_cvt_u32_f32_e32 v3, v3
	v_mul_lo_u32 v13, s4, v12
	v_mul_hi_u32 v15, s4, v3
	v_mul_lo_u32 v14, s5, v3
	v_add_u32_e32 v13, v15, v13
	v_mul_lo_u32 v16, s4, v3
	v_add_u32_e32 v13, v13, v14
	v_mul_lo_u32 v15, v3, v13
	v_mul_hi_u32 v17, v3, v16
	v_mul_hi_u32 v14, v3, v13
	v_add_co_u32_e32 v15, vcc, v17, v15
	v_addc_co_u32_e32 v14, vcc, 0, v14, vcc
	v_mul_hi_u32 v18, v12, v16
	v_mul_lo_u32 v16, v12, v16
	v_add_co_u32_e32 v15, vcc, v15, v16
	v_mul_hi_u32 v17, v12, v13
	v_addc_co_u32_e32 v14, vcc, v14, v18, vcc
	v_addc_co_u32_e32 v15, vcc, 0, v17, vcc
	v_mul_lo_u32 v13, v12, v13
	v_add_co_u32_e32 v13, vcc, v14, v13
	v_addc_co_u32_e32 v14, vcc, 0, v15, vcc
	v_add_co_u32_e32 v3, vcc, v3, v13
	v_addc_co_u32_e32 v12, vcc, v12, v14, vcc
	v_mul_lo_u32 v13, s4, v12
	v_mul_hi_u32 v14, s4, v3
	v_add_u32_e32 v13, v14, v13
	v_mul_lo_u32 v14, s5, v3
	v_add_u32_e32 v13, v13, v14
	v_mul_lo_u32 v15, s4, v3
	v_mul_hi_u32 v16, v12, v15
	v_mul_lo_u32 v17, v12, v15
	v_mul_lo_u32 v19, v3, v13
	v_mul_hi_u32 v15, v3, v15
	v_mul_hi_u32 v18, v3, v13
	v_add_co_u32_e32 v15, vcc, v15, v19
	v_addc_co_u32_e32 v18, vcc, 0, v18, vcc
	v_add_co_u32_e32 v15, vcc, v15, v17
	v_mul_hi_u32 v14, v12, v13
	v_addc_co_u32_e32 v15, vcc, v18, v16, vcc
	v_addc_co_u32_e32 v14, vcc, 0, v14, vcc
	v_mul_lo_u32 v13, v12, v13
	v_add_co_u32_e32 v13, vcc, v15, v13
	v_addc_co_u32_e32 v14, vcc, 0, v14, vcc
	v_add_co_u32_e32 v3, vcc, v3, v13
	v_addc_co_u32_e32 v12, vcc, v12, v14, vcc
	v_ashrrev_i32_e32 v14, 31, v11
	v_add_co_u32_e32 v10, vcc, v10, v14
	v_addc_co_u32_e32 v11, vcc, v11, v14, vcc
	v_xor_b32_e32 v16, v10, v14
	v_xor_b32_e32 v15, v11, v14
	v_mad_u64_u32 v[10:11], s[4:5], v16, v12, 0
	v_mul_hi_u32 v13, v16, v3
	v_add_co_u32_e32 v17, vcc, v13, v10
	v_addc_co_u32_e32 v18, vcc, 0, v11, vcc
	v_mad_u64_u32 v[10:11], s[4:5], v15, v12, 0
	v_mad_u64_u32 v[12:13], s[4:5], v15, v3, 0
	v_add_co_u32_e32 v3, vcc, v17, v12
	v_addc_co_u32_e32 v3, vcc, v18, v13, vcc
	v_addc_co_u32_e32 v11, vcc, 0, v11, vcc
	v_add_co_u32_e32 v3, vcc, v3, v10
	v_addc_co_u32_e32 v12, vcc, 0, v11, vcc
	v_mul_lo_u32 v13, s55, v3
	v_mul_lo_u32 v17, s54, v12
	v_mad_u64_u32 v[10:11], s[4:5], s54, v3, 0
	v_add3_u32 v11, v11, v17, v13
	v_sub_u32_e32 v13, v15, v11
	v_mov_b32_e32 v17, s55
	v_sub_co_u32_e32 v10, vcc, v16, v10
	v_subb_co_u32_e64 v13, s[4:5], v13, v17, vcc
	v_subrev_co_u32_e64 v16, s[4:5], s54, v10
	v_subbrev_co_u32_e64 v13, s[4:5], 0, v13, s[4:5]
	v_cmp_le_u32_e64 s[4:5], s55, v13
	v_cndmask_b32_e64 v17, 0, -1, s[4:5]
	v_cmp_le_u32_e64 s[4:5], s54, v16
	v_cndmask_b32_e64 v16, 0, -1, s[4:5]
	v_cmp_eq_u32_e64 s[4:5], s55, v13
	v_cndmask_b32_e64 v13, v17, v16, s[4:5]
	v_add_co_u32_e64 v16, s[4:5], 2, v3
	v_subb_co_u32_e32 v11, vcc, v15, v11, vcc
	v_addc_co_u32_e64 v17, s[4:5], 0, v12, s[4:5]
	v_cmp_le_u32_e32 vcc, s55, v11
	v_add_co_u32_e64 v18, s[4:5], 1, v3
	v_cndmask_b32_e64 v15, 0, -1, vcc
	v_cmp_le_u32_e32 vcc, s54, v10
	v_addc_co_u32_e64 v19, s[4:5], 0, v12, s[4:5]
	v_cndmask_b32_e64 v10, 0, -1, vcc
	v_cmp_eq_u32_e32 vcc, s55, v11
	v_cmp_ne_u32_e64 s[4:5], 0, v13
	v_cndmask_b32_e32 v10, v15, v10, vcc
	v_cndmask_b32_e64 v13, v19, v17, s[4:5]
	v_cmp_ne_u32_e32 vcc, 0, v10
	v_cndmask_b32_e64 v11, v18, v16, s[4:5]
	v_cndmask_b32_e32 v10, v12, v13, vcc
	v_cndmask_b32_e32 v3, v3, v11, vcc
	v_xor_b32_e32 v12, s52, v14
	v_xor_b32_e32 v11, s53, v14
	;; [unrolled: 1-line block ×4, first 2 shown]
	v_sub_co_u32_e32 v12, vcc, v3, v12
	v_subb_co_u32_e32 v13, vcc, v10, v11, vcc
                                        ; implicit-def: $vgpr10
	s_andn2_saveexec_b64 s[4:5], s[6:7]
	s_cbranch_execz .LBB21_25
.LBB21_27:                              ;   in Loop: Header=BB21_3 Depth=1
	v_cvt_f32_u32_e32 v3, s71
	s_sub_i32 s6, 0, s71
	v_mov_b32_e32 v13, v2
	v_rcp_iflag_f32_e32 v3, v3
	v_mul_f32_e32 v3, 0x4f7ffffe, v3
	v_cvt_u32_f32_e32 v3, v3
	v_mul_lo_u32 v11, s6, v3
	v_mul_hi_u32 v11, v3, v11
	v_add_u32_e32 v3, v3, v11
	v_mul_hi_u32 v3, v10, v3
	v_mul_lo_u32 v11, v3, s71
	v_sub_u32_e32 v10, v10, v11
	v_add_u32_e32 v12, 1, v3
	v_subrev_u32_e32 v11, s71, v10
	v_cmp_le_u32_e32 vcc, s71, v10
	v_cndmask_b32_e32 v10, v10, v11, vcc
	v_cndmask_b32_e32 v3, v3, v12, vcc
	v_add_u32_e32 v11, 1, v3
	v_cmp_le_u32_e32 vcc, s71, v10
	v_cndmask_b32_e32 v12, v3, v11, vcc
	s_or_b64 exec, exec, s[4:5]
	s_andn2_b64 vcc, exec, s[0:1]
	s_cbranch_vccnz .LBB21_2
.LBB21_28:                              ;   in Loop: Header=BB21_3 Depth=1
	v_add_co_u32_e32 v10, vcc, 1, v12
	v_addc_co_u32_e32 v11, vcc, 0, v13, vcc
	v_mov_b32_e32 v3, s27
	v_cmp_gt_i64_e32 vcc, s[26:27], v[10:11]
	v_cndmask_b32_e32 v11, v3, v11, vcc
	v_mov_b32_e32 v3, s26
	v_cndmask_b32_e32 v10, v3, v10, vcc
	v_add_co_u32_e32 v8, vcc, 1, v8
	v_addc_co_u32_e32 v9, vcc, 0, v9, vcc
	v_mov_b32_e32 v3, s25
	v_cmp_gt_i64_e32 vcc, s[24:25], v[8:9]
	v_cndmask_b32_e32 v9, v3, v9, vcc
	v_mov_b32_e32 v3, s24
	v_lshlrev_b64 v[12:13], 2, v[0:1]
	v_cndmask_b32_e32 v8, v3, v8, vcc
	v_mov_b32_e32 v14, s31
	v_add_co_u32_e32 v3, vcc, s30, v12
	v_addc_co_u32_e32 v34, vcc, v14, v13, vcc
	v_mov_b32_e32 v12, s74
	v_add_co_u32_e32 v13, vcc, s75, v4
	s_load_dword s76, s[28:29], 0x4
	v_addc_co_u32_e32 v12, vcc, v12, v5, vcc
	v_mul_lo_u32 v12, s26, v12
	v_mul_lo_u32 v16, s27, v13
	v_mad_u64_u32 v[14:15], s[52:53], s26, v13, v[6:7]
	v_add3_u32 v15, v16, v15, v12
	v_lshlrev_b64 v[12:13], 3, v[14:15]
	v_mov_b32_e32 v16, s15
	v_add_co_u32_e32 v12, vcc, s14, v12
	v_addc_co_u32_e32 v13, vcc, v16, v13, vcc
	s_waitcnt lgkmcnt(0)
	s_mul_i32 s52, s39, s76
	s_mul_hi_u32 s53, s38, s76
	v_lshlrev_b64 v[14:15], 2, v[14:15]
	s_add_i32 s77, s53, s52
	v_mov_b32_e32 v16, s13
	v_add_co_u32_e32 v14, vcc, s12, v14
	s_mul_i32 s52, s45, s76
	s_mul_hi_u32 s53, s44, s76
	v_cmp_lt_i64_e64 s[4:5], v[4:5], v[8:9]
	v_cmp_lt_i64_e64 s[6:7], v[6:7], v[10:11]
	s_mul_i32 s78, s38, s76
	v_addc_co_u32_e32 v15, vcc, v16, v15, vcc
	s_add_i32 s79, s53, s52
	s_mul_i32 s80, s44, s76
	s_mov_b64 s[52:53], s[10:11]
	s_branch .LBB21_30
.LBB21_29:                              ;   in Loop: Header=BB21_30 Depth=2
	v_mov_b32_e32 v16, s77
	v_add_co_u32_e32 v12, vcc, s78, v12
	v_addc_co_u32_e32 v13, vcc, v13, v16, vcc
	s_add_u32 s52, s52, s76
	v_mov_b32_e32 v16, s79
	v_add_co_u32_e32 v14, vcc, s80, v14
	s_addc_u32 s53, s53, 0
	v_addc_co_u32_e32 v15, vcc, v15, v16, vcc
	v_pk_mov_b32 v[16:17], s[16:17], s[16:17] op_sel:[0,1]
	v_cmp_ge_i64_e32 vcc, s[52:53], v[16:17]
	s_cbranch_vccnz .LBB21_2
.LBB21_30:                              ;   Parent Loop BB21_3 Depth=1
                                        ; =>  This Loop Header: Depth=2
                                        ;       Child Loop BB21_34 Depth 3
                                        ;         Child Loop BB21_38 Depth 4
                                        ;           Child Loop BB21_41 Depth 5
	s_andn2_b64 vcc, exec, s[2:3]
	s_cbranch_vccnz .LBB21_29
; %bb.31:                               ;   in Loop: Header=BB21_30 Depth=2
	s_load_dword s81, s[28:29], 0x8
	s_mul_i32 s54, s52, s19
	s_mul_hi_u32 s55, s52, s18
	s_add_i32 s54, s55, s54
	s_mul_i32 s55, s53, s18
	s_add_i32 s82, s54, s55
	s_waitcnt lgkmcnt(0)
	s_mul_i32 s54, s41, s81
	s_mul_hi_u32 s55, s40, s81
	s_add_i32 s84, s55, s54
	s_mul_i32 s54, s47, s81
	s_mul_hi_u32 s55, s46, s81
	s_mul_i32 s83, s52, s18
	s_mul_i32 s85, s40, s81
	s_add_i32 s86, s55, s54
	s_mul_i32 s87, s46, s81
	v_pk_mov_b32 v[16:17], v[14:15], v[14:15] op_sel:[0,1]
	v_pk_mov_b32 v[18:19], v[12:13], v[12:13] op_sel:[0,1]
	s_mov_b64 s[54:55], s[8:9]
	s_branch .LBB21_34
.LBB21_32:                              ;   in Loop: Header=BB21_34 Depth=3
	s_or_b64 exec, exec, s[58:59]
.LBB21_33:                              ;   in Loop: Header=BB21_34 Depth=3
	s_or_b64 exec, exec, s[56:57]
	s_add_u32 s56, s54, s83
	s_addc_u32 s57, s55, s82
	s_mul_i32 s57, s20, s57
	s_mul_hi_u32 s58, s20, s56
	s_add_i32 s57, s58, s57
	s_mul_i32 s58, s21, s56
	s_add_i32 s57, s57, s58
	s_mul_i32 s56, s20, s56
	s_lshl_b64 s[56:57], s[56:57], 2
	v_mov_b32_e32 v21, s57
	v_add_co_u32_e32 v20, vcc, s56, v3
	v_addc_co_u32_e32 v21, vcc, v34, v21, vcc
	global_store_dword v[20:21], v35, off
	v_mov_b32_e32 v20, s84
	v_add_co_u32_e32 v18, vcc, s85, v18
	v_addc_co_u32_e32 v19, vcc, v19, v20, vcc
	s_add_u32 s54, s54, s81
	v_mov_b32_e32 v20, s86
	v_add_co_u32_e32 v16, vcc, s87, v16
	s_addc_u32 s55, s55, 0
	v_addc_co_u32_e32 v17, vcc, v17, v20, vcc
	v_pk_mov_b32 v[20:21], s[18:19], s[18:19] op_sel:[0,1]
	v_cmp_ge_i64_e32 vcc, s[54:55], v[20:21]
	s_cbranch_vccnz .LBB21_29
.LBB21_34:                              ;   Parent Loop BB21_3 Depth=1
                                        ;     Parent Loop BB21_30 Depth=2
                                        ; =>    This Loop Header: Depth=3
                                        ;         Child Loop BB21_38 Depth 4
                                        ;           Child Loop BB21_41 Depth 5
	v_mov_b32_e32 v35, 0
	s_and_saveexec_b64 s[56:57], s[4:5]
	s_cbranch_execz .LBB21_33
; %bb.35:                               ;   in Loop: Header=BB21_34 Depth=3
	s_mov_b64 s[58:59], 0
	v_mov_b32_e32 v35, 0
	v_pk_mov_b32 v[20:21], v[16:17], v[16:17] op_sel:[0,1]
	v_pk_mov_b32 v[22:23], v[18:19], v[18:19] op_sel:[0,1]
	;; [unrolled: 1-line block ×3, first 2 shown]
	s_branch .LBB21_38
.LBB21_36:                              ;   in Loop: Header=BB21_38 Depth=4
	s_or_b64 exec, exec, s[62:63]
.LBB21_37:                              ;   in Loop: Header=BB21_38 Depth=4
	s_or_b64 exec, exec, s[60:61]
	v_add_co_u32_e32 v24, vcc, 1, v24
	v_addc_co_u32_e32 v25, vcc, 0, v25, vcc
	v_mov_b32_e32 v26, s43
	v_add_co_u32_e32 v22, vcc, s42, v22
	v_addc_co_u32_e32 v23, vcc, v23, v26, vcc
	v_cmp_ge_i64_e32 vcc, v[24:25], v[8:9]
	v_mov_b32_e32 v26, s49
	s_or_b64 s[58:59], vcc, s[58:59]
	v_add_co_u32_e32 v20, vcc, s48, v20
	v_addc_co_u32_e32 v21, vcc, v21, v26, vcc
	s_andn2_b64 exec, exec, s[58:59]
	s_cbranch_execz .LBB21_32
.LBB21_38:                              ;   Parent Loop BB21_3 Depth=1
                                        ;     Parent Loop BB21_30 Depth=2
                                        ;       Parent Loop BB21_34 Depth=3
                                        ; =>      This Loop Header: Depth=4
                                        ;           Child Loop BB21_41 Depth 5
	s_and_saveexec_b64 s[60:61], s[6:7]
	s_cbranch_execz .LBB21_37
; %bb.39:                               ;   in Loop: Header=BB21_38 Depth=4
	s_mov_b64 s[62:63], 0
	v_pk_mov_b32 v[26:27], v[20:21], v[20:21] op_sel:[0,1]
	v_pk_mov_b32 v[28:29], v[22:23], v[22:23] op_sel:[0,1]
	;; [unrolled: 1-line block ×3, first 2 shown]
	s_branch .LBB21_41
.LBB21_40:                              ;   in Loop: Header=BB21_41 Depth=5
	s_or_b64 exec, exec, s[64:65]
	v_add_co_u32_e32 v30, vcc, 1, v30
	v_addc_co_u32_e32 v31, vcc, 0, v31, vcc
	v_add_co_u32_e32 v28, vcc, 8, v28
	v_addc_co_u32_e32 v29, vcc, 0, v29, vcc
	v_cmp_ge_i64_e32 vcc, v[30:31], v[10:11]
	s_or_b64 s[62:63], vcc, s[62:63]
	v_add_co_u32_e32 v26, vcc, 4, v26
	v_addc_co_u32_e32 v27, vcc, 0, v27, vcc
	s_andn2_b64 exec, exec, s[62:63]
	s_cbranch_execz .LBB21_36
.LBB21_41:                              ;   Parent Loop BB21_3 Depth=1
                                        ;     Parent Loop BB21_30 Depth=2
                                        ;       Parent Loop BB21_34 Depth=3
                                        ;         Parent Loop BB21_38 Depth=4
                                        ; =>        This Inner Loop Header: Depth=5
	global_load_dwordx2 v[36:37], v[28:29], off
	s_waitcnt vmcnt(0)
	v_cmp_eq_u64_e32 vcc, v[36:37], v[0:1]
	s_and_saveexec_b64 s[64:65], vcc
	s_cbranch_execz .LBB21_40
; %bb.42:                               ;   in Loop: Header=BB21_41 Depth=5
	global_load_dword v36, v[26:27], off
	s_waitcnt vmcnt(0)
	v_add_f32_e32 v35, v35, v36
	s_branch .LBB21_40
.LBB21_43:
	s_endpgm
	.section	.rodata,"a",@progbits
	.p2align	6, 0x0
	.amdhsa_kernel _ZN2at6native12_GLOBAL__N_122max_pool_backward_nchwIfflEEvPKT_PKlT1_S8_S8_S8_S8_S8_iiiiiiiiPS3_
		.amdhsa_group_segment_fixed_size 0
		.amdhsa_private_segment_fixed_size 0
		.amdhsa_kernarg_size 360
		.amdhsa_user_sgpr_count 6
		.amdhsa_user_sgpr_private_segment_buffer 1
		.amdhsa_user_sgpr_dispatch_ptr 0
		.amdhsa_user_sgpr_queue_ptr 0
		.amdhsa_user_sgpr_kernarg_segment_ptr 1
		.amdhsa_user_sgpr_dispatch_id 0
		.amdhsa_user_sgpr_flat_scratch_init 0
		.amdhsa_user_sgpr_kernarg_preload_length 0
		.amdhsa_user_sgpr_kernarg_preload_offset 0
		.amdhsa_user_sgpr_private_segment_size 0
		.amdhsa_uses_dynamic_stack 0
		.amdhsa_system_sgpr_private_segment_wavefront_offset 0
		.amdhsa_system_sgpr_workgroup_id_x 1
		.amdhsa_system_sgpr_workgroup_id_y 1
		.amdhsa_system_sgpr_workgroup_id_z 1
		.amdhsa_system_sgpr_workgroup_info 0
		.amdhsa_system_vgpr_workitem_id 0
		.amdhsa_next_free_vgpr 38
		.amdhsa_next_free_sgpr 88
		.amdhsa_accum_offset 40
		.amdhsa_reserve_vcc 1
		.amdhsa_reserve_flat_scratch 0
		.amdhsa_float_round_mode_32 0
		.amdhsa_float_round_mode_16_64 0
		.amdhsa_float_denorm_mode_32 3
		.amdhsa_float_denorm_mode_16_64 3
		.amdhsa_dx10_clamp 1
		.amdhsa_ieee_mode 1
		.amdhsa_fp16_overflow 0
		.amdhsa_tg_split 0
		.amdhsa_exception_fp_ieee_invalid_op 0
		.amdhsa_exception_fp_denorm_src 0
		.amdhsa_exception_fp_ieee_div_zero 0
		.amdhsa_exception_fp_ieee_overflow 0
		.amdhsa_exception_fp_ieee_underflow 0
		.amdhsa_exception_fp_ieee_inexact 0
		.amdhsa_exception_int_div_zero 0
	.end_amdhsa_kernel
	.section	.text._ZN2at6native12_GLOBAL__N_122max_pool_backward_nchwIfflEEvPKT_PKlT1_S8_S8_S8_S8_S8_iiiiiiiiPS3_,"axG",@progbits,_ZN2at6native12_GLOBAL__N_122max_pool_backward_nchwIfflEEvPKT_PKlT1_S8_S8_S8_S8_S8_iiiiiiiiPS3_,comdat
.Lfunc_end21:
	.size	_ZN2at6native12_GLOBAL__N_122max_pool_backward_nchwIfflEEvPKT_PKlT1_S8_S8_S8_S8_S8_iiiiiiiiPS3_, .Lfunc_end21-_ZN2at6native12_GLOBAL__N_122max_pool_backward_nchwIfflEEvPKT_PKlT1_S8_S8_S8_S8_S8_iiiiiiiiPS3_
                                        ; -- End function
	.section	.AMDGPU.csdata,"",@progbits
; Kernel info:
; codeLenInByte = 5320
; NumSgprs: 92
; NumVgprs: 38
; NumAgprs: 0
; TotalNumVgprs: 38
; ScratchSize: 0
; MemoryBound: 0
; FloatMode: 240
; IeeeMode: 1
; LDSByteSize: 0 bytes/workgroup (compile time only)
; SGPRBlocks: 11
; VGPRBlocks: 4
; NumSGPRsForWavesPerEU: 92
; NumVGPRsForWavesPerEU: 38
; AccumOffset: 40
; Occupancy: 8
; WaveLimiterHint : 0
; COMPUTE_PGM_RSRC2:SCRATCH_EN: 0
; COMPUTE_PGM_RSRC2:USER_SGPR: 6
; COMPUTE_PGM_RSRC2:TRAP_HANDLER: 0
; COMPUTE_PGM_RSRC2:TGID_X_EN: 1
; COMPUTE_PGM_RSRC2:TGID_Y_EN: 1
; COMPUTE_PGM_RSRC2:TGID_Z_EN: 1
; COMPUTE_PGM_RSRC2:TIDIG_COMP_CNT: 0
; COMPUTE_PGM_RSRC3_GFX90A:ACCUM_OFFSET: 9
; COMPUTE_PGM_RSRC3_GFX90A:TG_SPLIT: 0
	.section	.text._ZN2at6native12_GLOBAL__N_122max_pool_backward_nhwcIN3c104HalfEfEEvPKT_PKlillliiiiiiiiiiiiiiiPS5_,"axG",@progbits,_ZN2at6native12_GLOBAL__N_122max_pool_backward_nhwcIN3c104HalfEfEEvPKT_PKlillliiiiiiiiiiiiiiiPS5_,comdat
	.globl	_ZN2at6native12_GLOBAL__N_122max_pool_backward_nhwcIN3c104HalfEfEEvPKT_PKlillliiiiiiiiiiiiiiiPS5_ ; -- Begin function _ZN2at6native12_GLOBAL__N_122max_pool_backward_nhwcIN3c104HalfEfEEvPKT_PKlillliiiiiiiiiiiiiiiPS5_
	.p2align	8
	.type	_ZN2at6native12_GLOBAL__N_122max_pool_backward_nhwcIN3c104HalfEfEEvPKT_PKlillliiiiiiiiiiiiiiiPS5_,@function
_ZN2at6native12_GLOBAL__N_122max_pool_backward_nhwcIN3c104HalfEfEEvPKT_PKlillliiiiiiiiiiiiiiiPS5_: ; @_ZN2at6native12_GLOBAL__N_122max_pool_backward_nhwcIN3c104HalfEfEEvPKT_PKlillliiiiiiiiiiiiiiiPS5_
; %bb.0:
	s_load_dword s38, s[4:5], 0x10
	s_load_dwordx4 s[0:3], s[4:5], 0x7c
	s_load_dwordx8 s[12:19], s[4:5], 0x30
	s_load_dwordx8 s[20:27], s[4:5], 0x50
	v_and_b32_e32 v2, 0x3ff, v0
	s_waitcnt lgkmcnt(0)
	v_cvt_f32_u32_e32 v1, s38
	v_bfe_u32 v4, v0, 10, 10
	v_bfe_u32 v5, v0, 20, 10
	s_lshr_b32 s52, s2, 16
	v_rcp_iflag_f32_e32 v1, v1
	s_and_b32 s9, s2, 0xffff
	v_mad_u32_u24 v3, v5, s52, v4
	s_and_b32 s33, s3, 0xffff
	v_mul_f32_e32 v0, 0x4f7ffffe, v1
	v_cvt_u32_f32_e32 v6, v0
	v_mad_u64_u32 v[0:1], s[2:3], v3, s9, v[2:3]
	s_sub_i32 s2, 0, s38
	v_readfirstlane_b32 s3, v6
	s_mul_i32 s2, s2, s3
	s_mul_hi_u32 s2, s3, s2
	s_add_i32 s3, s3, s2
	s_mul_i32 s2, s9, s26
	s_mul_i32 s28, s2, s52
	;; [unrolled: 1-line block ×3, first 2 shown]
	s_mul_hi_u32 s27, s6, s3
	v_cmp_gt_u32_e32 vcc, s28, v0
	s_and_saveexec_b64 s[2:3], vcc
	s_cbranch_execz .LBB22_3
; %bb.1:
	s_mul_i32 s29, s52, s9
	s_mul_i32 s29, s29, s33
	v_lshl_add_u32 v1, v0, 2, 0
	s_lshl_b32 s30, s29, 2
	s_mov_b64 s[10:11], 0
	v_mov_b32_e32 v6, 0
.LBB22_2:                               ; =>This Inner Loop Header: Depth=1
	v_add_u32_e32 v0, s29, v0
	v_cmp_le_u32_e32 vcc, s28, v0
	ds_write_b32 v1, v6
	s_or_b64 s[10:11], vcc, s[10:11]
	v_add_u32_e32 v1, s30, v1
	s_andn2_b64 exec, exec, s[10:11]
	s_cbranch_execnz .LBB22_2
.LBB22_3:
	s_or_b64 exec, exec, s[2:3]
	s_load_dwordx4 s[28:31], s[4:5], 0x18
	s_load_dwordx2 s[10:11], s[4:5], 0x28
	s_mov_b32 s2, 0
	s_mov_b64 s[34:35], -1
	v_cvt_f32_ubyte0_e32 v0, 0
	s_waitcnt lgkmcnt(0)
	s_add_u32 s3, s30, s1
	s_addc_u32 s37, s31, 0
	s_add_u32 s36, s3, -1
	s_addc_u32 s3, s37, -1
	s_cmp_lg_u64 s[2:3], 0
	s_barrier
	s_cbranch_scc0 .LBB22_60
; %bb.4:
	v_cvt_f32_u32_e32 v1, s1
	s_sub_u32 s2, 0, s1
	s_subb_u32 s37, 0, 0
	v_madmk_f32 v1, v0, 0x4f800000, v1
	v_rcp_f32_e32 v1, v1
	v_mul_f32_e32 v1, 0x5f7ffffc, v1
	v_mul_f32_e32 v6, 0x2f800000, v1
	v_trunc_f32_e32 v6, v6
	v_madmk_f32 v1, v6, 0xcf800000, v1
	v_cvt_u32_f32_e32 v6, v6
	v_cvt_u32_f32_e32 v1, v1
	v_readfirstlane_b32 s39, v6
	v_readfirstlane_b32 s40, v1
	s_mul_i32 s41, s2, s39
	s_mul_hi_u32 s43, s2, s40
	s_mul_i32 s42, s37, s40
	s_add_i32 s41, s43, s41
	s_mul_i32 s44, s2, s40
	s_add_i32 s41, s41, s42
	s_mul_hi_u32 s42, s40, s41
	s_mul_i32 s43, s40, s41
	s_mul_hi_u32 s40, s40, s44
	s_add_u32 s40, s40, s43
	s_addc_u32 s42, 0, s42
	s_mul_hi_u32 s45, s39, s44
	s_mul_i32 s44, s39, s44
	s_add_u32 s40, s40, s44
	s_mul_hi_u32 s43, s39, s41
	s_addc_u32 s40, s42, s45
	s_addc_u32 s42, s43, 0
	s_mul_i32 s41, s39, s41
	s_add_u32 s40, s40, s41
	s_addc_u32 s41, 0, s42
	v_add_co_u32_e32 v1, vcc, s40, v1
	s_cmp_lg_u64 vcc, 0
	s_addc_u32 s39, s39, s41
	v_readfirstlane_b32 s41, v1
	s_mul_i32 s40, s2, s39
	s_mul_hi_u32 s42, s2, s41
	s_add_i32 s40, s42, s40
	s_mul_i32 s37, s37, s41
	s_add_i32 s40, s40, s37
	s_mul_i32 s2, s2, s41
	s_mul_hi_u32 s42, s39, s2
	s_mul_i32 s43, s39, s2
	s_mul_i32 s45, s41, s40
	s_mul_hi_u32 s2, s41, s2
	s_mul_hi_u32 s44, s41, s40
	s_add_u32 s2, s2, s45
	s_addc_u32 s41, 0, s44
	s_add_u32 s2, s2, s43
	s_mul_hi_u32 s37, s39, s40
	s_addc_u32 s2, s41, s42
	s_addc_u32 s37, s37, 0
	s_mul_i32 s40, s39, s40
	s_add_u32 s2, s2, s40
	s_addc_u32 s37, 0, s37
	v_add_co_u32_e32 v1, vcc, s2, v1
	s_cmp_lg_u64 vcc, 0
	s_addc_u32 s37, s39, s37
	s_ashr_i32 s40, s3, 31
	s_add_u32 s2, s36, s40
	s_mov_b32 s41, s40
	s_addc_u32 s3, s3, s40
	s_xor_b64 s[2:3], s[2:3], s[40:41]
	v_readfirstlane_b32 s43, v1
	s_mul_i32 s42, s2, s37
	s_mul_hi_u32 s44, s2, s43
	s_mul_hi_u32 s39, s2, s37
	s_add_u32 s42, s44, s42
	s_addc_u32 s39, 0, s39
	s_mul_hi_u32 s45, s3, s43
	s_mul_i32 s43, s3, s43
	s_add_u32 s42, s42, s43
	s_mul_hi_u32 s44, s3, s37
	s_addc_u32 s39, s39, s45
	s_addc_u32 s42, s44, 0
	s_mul_i32 s37, s3, s37
	s_add_u32 s37, s39, s37
	s_addc_u32 s39, 0, s42
	s_add_u32 s42, s37, 1
	s_addc_u32 s43, s39, 0
	s_add_u32 s44, s37, 2
	s_mul_i32 s46, s1, s39
	s_mul_hi_u32 s47, s1, s37
	s_addc_u32 s45, s39, 0
	s_add_i32 s47, s47, s46
	s_mul_i32 s46, s1, s37
	v_mov_b32_e32 v1, s46
	v_sub_co_u32_e32 v1, vcc, s2, v1
	s_cmp_lg_u64 vcc, 0
	s_subb_u32 s2, s3, s47
	v_subrev_co_u32_e32 v6, vcc, s1, v1
	s_cmp_lg_u64 vcc, 0
	s_subb_u32 s3, s2, 0
	v_readfirstlane_b32 s46, v6
	s_cmp_ge_u32 s46, s1
	s_cselect_b32 s46, -1, 0
	s_cmp_eq_u32 s3, 0
	s_cselect_b32 s3, s46, -1
	s_cmp_lg_u32 s3, 0
	s_cselect_b32 s3, s45, s43
	v_readfirstlane_b32 s43, v1
	s_cselect_b32 s42, s44, s42
	s_cmp_ge_u32 s43, s1
	s_cselect_b32 s43, -1, 0
	s_cmp_eq_u32 s2, 0
	s_cselect_b32 s2, s43, -1
	s_cmp_lg_u32 s2, 0
	s_cselect_b32 s3, s3, s39
	s_cselect_b32 s2, s42, s37
	s_xor_b64 s[2:3], s[2:3], s[40:41]
	s_sub_u32 s2, s2, s40
	s_subb_u32 s3, s3, s40
	s_cbranch_execnz .LBB22_6
.LBB22_5:
	v_cvt_f32_u32_e32 v1, s1
	s_sub_i32 s2, 0, s1
	s_mov_b32 s3, 0
	v_rcp_iflag_f32_e32 v1, v1
	v_mul_f32_e32 v1, 0x4f7ffffe, v1
	v_cvt_u32_f32_e32 v1, v1
	v_readfirstlane_b32 s34, v1
	s_mul_i32 s2, s2, s34
	s_mul_hi_u32 s2, s34, s2
	s_add_i32 s34, s34, s2
	s_mul_hi_u32 s2, s36, s34
	s_mul_i32 s35, s2, s1
	s_sub_i32 s35, s36, s35
	s_add_i32 s34, s2, 1
	s_sub_i32 s36, s35, s1
	s_cmp_ge_u32 s35, s1
	s_cselect_b32 s2, s34, s2
	s_cselect_b32 s35, s36, s35
	s_add_i32 s34, s2, 1
	s_cmp_ge_u32 s35, s1
	s_cselect_b32 s2, s34, s2
.LBB22_6:
	s_add_u32 s1, s10, s0
	s_addc_u32 s34, s11, 0
	s_add_u32 s1, s1, -1
	s_mov_b32 s36, 0
	s_addc_u32 s37, s34, -1
	s_cmp_lg_u64 s[36:37], 0
	s_mov_b64 s[34:35], -1
	s_cbranch_scc0 .LBB22_61
; %bb.7:
	v_cvt_f32_u32_e32 v1, s0
	s_sub_u32 s36, 0, s0
	s_subb_u32 s39, 0, 0
	v_madmk_f32 v0, v0, 0x4f800000, v1
	v_rcp_f32_e32 v0, v0
	v_mul_f32_e32 v0, 0x5f7ffffc, v0
	v_mul_f32_e32 v1, 0x2f800000, v0
	v_trunc_f32_e32 v1, v1
	v_madmk_f32 v0, v1, 0xcf800000, v0
	v_cvt_u32_f32_e32 v1, v1
	v_cvt_u32_f32_e32 v0, v0
	v_readfirstlane_b32 s40, v1
	v_readfirstlane_b32 s41, v0
	s_mul_i32 s42, s36, s40
	s_mul_hi_u32 s44, s36, s41
	s_mul_i32 s43, s39, s41
	s_add_i32 s42, s44, s42
	s_mul_i32 s45, s36, s41
	s_add_i32 s42, s42, s43
	s_mul_hi_u32 s43, s41, s42
	s_mul_i32 s44, s41, s42
	s_mul_hi_u32 s41, s41, s45
	s_add_u32 s41, s41, s44
	s_addc_u32 s43, 0, s43
	s_mul_hi_u32 s46, s40, s45
	s_mul_i32 s45, s40, s45
	s_add_u32 s41, s41, s45
	s_mul_hi_u32 s44, s40, s42
	s_addc_u32 s41, s43, s46
	s_addc_u32 s43, s44, 0
	s_mul_i32 s42, s40, s42
	s_add_u32 s41, s41, s42
	s_addc_u32 s42, 0, s43
	v_add_co_u32_e32 v0, vcc, s41, v0
	s_cmp_lg_u64 vcc, 0
	s_addc_u32 s40, s40, s42
	v_readfirstlane_b32 s42, v0
	s_mul_i32 s41, s36, s40
	s_mul_hi_u32 s43, s36, s42
	s_add_i32 s41, s43, s41
	s_mul_i32 s39, s39, s42
	s_add_i32 s41, s41, s39
	s_mul_i32 s36, s36, s42
	s_mul_hi_u32 s43, s40, s36
	s_mul_i32 s44, s40, s36
	s_mul_i32 s46, s42, s41
	s_mul_hi_u32 s36, s42, s36
	s_mul_hi_u32 s45, s42, s41
	s_add_u32 s36, s36, s46
	s_addc_u32 s42, 0, s45
	s_add_u32 s36, s36, s44
	s_mul_hi_u32 s39, s40, s41
	s_addc_u32 s36, s42, s43
	s_addc_u32 s39, s39, 0
	s_mul_i32 s41, s40, s41
	s_add_u32 s36, s36, s41
	s_addc_u32 s39, 0, s39
	v_add_co_u32_e32 v0, vcc, s36, v0
	s_cmp_lg_u64 vcc, 0
	s_addc_u32 s39, s40, s39
	s_ashr_i32 s40, s37, 31
	s_add_u32 s36, s1, s40
	s_mov_b32 s41, s40
	s_addc_u32 s37, s37, s40
	s_xor_b64 s[36:37], s[36:37], s[40:41]
	v_readfirstlane_b32 s44, v0
	s_mul_i32 s43, s36, s39
	s_mul_hi_u32 s45, s36, s44
	s_mul_hi_u32 s42, s36, s39
	s_add_u32 s43, s45, s43
	s_addc_u32 s42, 0, s42
	s_mul_hi_u32 s46, s37, s44
	s_mul_i32 s44, s37, s44
	s_add_u32 s43, s43, s44
	s_mul_hi_u32 s45, s37, s39
	s_addc_u32 s42, s42, s46
	s_addc_u32 s43, s45, 0
	s_mul_i32 s39, s37, s39
	s_add_u32 s39, s42, s39
	s_addc_u32 s42, 0, s43
	s_add_u32 s43, s39, 1
	s_addc_u32 s44, s42, 0
	s_add_u32 s45, s39, 2
	s_mul_i32 s47, s0, s42
	s_mul_hi_u32 s48, s0, s39
	s_addc_u32 s46, s42, 0
	s_add_i32 s48, s48, s47
	s_mul_i32 s47, s0, s39
	v_mov_b32_e32 v0, s47
	v_sub_co_u32_e32 v0, vcc, s36, v0
	s_cmp_lg_u64 vcc, 0
	s_subb_u32 s36, s37, s48
	v_subrev_co_u32_e32 v1, vcc, s0, v0
	s_cmp_lg_u64 vcc, 0
	s_subb_u32 s37, s36, 0
	v_readfirstlane_b32 s47, v1
	s_cmp_ge_u32 s47, s0
	s_cselect_b32 s47, -1, 0
	s_cmp_eq_u32 s37, 0
	s_cselect_b32 s37, s47, -1
	s_cmp_lg_u32 s37, 0
	s_cselect_b32 s37, s46, s44
	v_readfirstlane_b32 s44, v0
	s_cselect_b32 s43, s45, s43
	s_cmp_ge_u32 s44, s0
	s_cselect_b32 s44, -1, 0
	s_cmp_eq_u32 s36, 0
	s_cselect_b32 s36, s44, -1
	s_cmp_lg_u32 s36, 0
	s_cselect_b32 s37, s37, s42
	s_cselect_b32 s36, s43, s39
	s_xor_b64 s[36:37], s[36:37], s[40:41]
	s_sub_u32 s36, s36, s40
	s_subb_u32 s37, s37, s40
	s_cbranch_execnz .LBB22_9
.LBB22_8:
	v_cvt_f32_u32_e32 v0, s0
	s_sub_i32 s34, 0, s0
	s_mov_b32 s37, 0
	v_rcp_iflag_f32_e32 v0, v0
	v_mul_f32_e32 v0, 0x4f7ffffe, v0
	v_cvt_u32_f32_e32 v0, v0
	v_readfirstlane_b32 s35, v0
	s_mul_i32 s34, s34, s35
	s_mul_hi_u32 s34, s35, s34
	s_add_i32 s35, s35, s34
	s_mul_hi_u32 s34, s1, s35
	s_mul_i32 s36, s34, s0
	s_sub_i32 s1, s1, s36
	s_add_i32 s35, s34, 1
	s_sub_i32 s36, s1, s0
	s_cmp_ge_u32 s1, s0
	s_cselect_b32 s34, s35, s34
	s_cselect_b32 s1, s36, s1
	s_add_i32 s35, s34, 1
	s_cmp_ge_u32 s1, s0
	s_cselect_b32 s36, s35, s34
.LBB22_9:
	s_mul_i32 s8, s8, s2
	v_add_u32_e32 v18, s8, v5
	s_bfe_i64 s[0:1], s[2:3], 0x200000
	v_ashrrev_i32_e32 v1, 31, v18
	v_mov_b32_e32 v5, s1
	v_add_co_u32_e32 v0, vcc, s0, v18
	v_addc_co_u32_e32 v1, vcc, v5, v1, vcc
	v_mov_b32_e32 v5, s30
	v_cmp_gt_i64_e32 vcc, s[30:31], v[0:1]
	v_cndmask_b32_e32 v19, v5, v0, vcc
	v_cmp_lt_i32_e32 vcc, v18, v19
	s_and_saveexec_b64 s[0:1], vcc
	s_cbranch_execz .LBB22_59
; %bb.10:
	s_mul_i32 s7, s7, s36
	v_add_u32_e32 v20, s7, v4
	s_bfe_i64 s[0:1], s[36:37], 0x200000
	v_mov_b32_e32 v4, s1
	v_add_co_u32_e32 v0, vcc, s0, v20
	s_load_dwordx4 s[0:3], s[4:5], 0x0
	s_load_dwordx2 s[34:35], s[4:5], 0x70
	s_mul_i32 s4, s27, s38
	s_sub_i32 s4, s6, s4
	s_add_i32 s5, s27, 1
	s_sub_i32 s7, s4, s38
	s_cmp_ge_u32 s4, s38
	s_cselect_b32 s5, s5, s27
	s_cselect_b32 s4, s7, s4
	s_add_i32 s7, s5, 1
	s_cmp_ge_u32 s4, s38
	s_cselect_b32 s8, s7, s5
	s_mul_i32 s5, s30, s29
	s_mul_hi_u32 s7, s30, s28
	v_ashrrev_i32_e32 v1, 31, v20
	s_add_i32 s5, s7, s5
	s_mul_i32 s7, s31, s28
	v_addc_co_u32_e32 v1, vcc, v4, v1, vcc
	s_mul_i32 s4, s8, s38
	s_add_i32 s5, s5, s7
	s_mul_i32 s7, s30, s28
	v_cmp_gt_i64_e32 vcc, s[10:11], v[0:1]
	s_sub_i32 s6, s6, s4
	s_mul_i32 s11, s7, s11
	s_mul_hi_u32 s27, s7, s10
	s_ashr_i32 s4, s6, 31
	s_add_i32 s11, s27, s11
	s_mul_i32 s5, s5, s10
	s_mul_i32 s7, s7, s10
	s_add_i32 s5, s11, s5
	s_mul_i32 s4, s7, s4
	s_mul_hi_u32 s11, s7, s6
	s_mul_i32 s5, s5, s6
	s_add_i32 s4, s11, s4
	s_add_i32 s5, s4, s5
	s_mul_i32 s4, s7, s6
	s_lshl_b64 s[4:5], s[4:5], 1
	s_waitcnt lgkmcnt(0)
	s_add_u32 s11, s34, s4
	s_mul_i32 s4, s13, s12
	s_mul_i32 s4, s4, s6
	s_addc_u32 s53, s35, s5
	s_ashr_i32 s5, s4, 31
	s_mul_i32 s6, s4, s29
	s_mul_hi_u32 s7, s4, s28
	s_add_i32 s6, s7, s6
	s_mul_i32 s5, s5, s28
	s_add_i32 s5, s6, s5
	s_mul_i32 s4, s4, s28
	s_lshl_b64 s[6:7], s[4:5], 3
	s_add_u32 s54, s2, s6
	s_addc_u32 s55, s3, s7
	s_lshl_b64 s[2:3], s[4:5], 1
	s_add_u32 s56, s0, s2
	v_mov_b32_e32 v4, s10
	s_addc_u32 s57, s1, s3
	s_abs_i32 s61, s16
	v_cndmask_b32_e32 v21, v4, v0, vcc
	v_cvt_f32_u32_e32 v4, s61
	s_abs_i32 s64, s17
	v_cvt_f32_u32_e32 v5, s64
	s_sub_i32 s2, 0, s61
	v_rcp_iflag_f32_e32 v4, v4
	s_mul_i32 s0, s8, s9
	v_rcp_iflag_f32_e32 v5, v5
	v_mul_lo_u32 v3, s26, v3
	v_mul_f32_e32 v4, 0x4f7ffffe, v4
	v_cvt_u32_f32_e32 v4, v4
	v_mul_f32_e32 v5, 0x4f7ffffe, v5
	v_cvt_u32_f32_e32 v5, v5
	v_add_u32_e32 v0, s0, v2
	v_mul_lo_u32 v6, s2, v4
	v_mul_hi_u32 v6, v4, v6
	s_sub_i32 s2, 0, s64
	v_add_u32_e32 v22, v4, v6
	v_mul_lo_u32 v4, s2, v5
	s_add_i32 s2, s8, s25
	s_add_i32 s58, s14, -1
	s_add_i32 s60, s15, -1
	s_mul_i32 s2, s2, s9
	v_mul_lo_u32 v3, v3, s9
	s_mul_i32 s58, s58, s20
	s_mul_i32 s60, s60, s21
	v_ashrrev_i32_e32 v1, 31, v0
	v_mul_hi_u32 v4, v5, v4
	v_mul_lo_u32 v24, s22, v0
	s_mul_i32 s22, s25, s22
	v_add_u32_e32 v25, s2, v2
	v_lshlrev_b32_e32 v3, 2, v3
	v_lshlrev_b32_e32 v2, 2, v2
	s_not_b32 s59, s58
	v_cmp_lt_i32_e32 vcc, v20, v21
	s_not_b32 s62, s60
	v_cmp_gt_i64_e64 s[0:1], s[28:29], v[0:1]
	s_mul_i32 s63, s9, s25
	s_ashr_i32 s65, s16, 31
	s_ashr_i32 s66, s17, 31
	v_add_u32_e32 v23, v5, v4
	s_mul_i32 s22, s22, s9
	v_add3_u32 v26, v3, v2, 0
	s_lshl_b32 s25, s9, 2
	s_mov_b64 s[14:15], 0
	v_mov_b32_e32 v27, 0
                                        ; implicit-def: $vgpr28
                                        ; implicit-def: $vgpr29
                                        ; implicit-def: $vgpr30
                                        ; implicit-def: $vgpr31
	s_branch .LBB22_13
.LBB22_11:                              ;   in Loop: Header=BB22_13 Depth=1
	s_or_b64 exec, exec, s[20:21]
.LBB22_12:                              ;   in Loop: Header=BB22_13 Depth=1
	s_or_b64 exec, exec, s[16:17]
	v_add_u32_e32 v18, s33, v18
	v_cmp_ge_i32_e64 s[2:3], v18, v19
	s_or_b64 s[14:15], s[2:3], s[14:15]
	s_andn2_b64 exec, exec, s[14:15]
	s_cbranch_execz .LBB22_59
.LBB22_13:                              ; =>This Loop Header: Depth=1
                                        ;     Child Loop BB22_19 Depth 2
                                        ;       Child Loop BB22_28 Depth 3
                                        ;         Child Loop BB22_31 Depth 4
                                        ;           Child Loop BB22_34 Depth 5
                                        ;       Child Loop BB22_40 Depth 3
                                        ;       Child Loop BB22_51 Depth 3
	;; [unrolled: 1-line block ×3, first 2 shown]
	v_add_u32_e32 v2, s18, v18
	v_cmp_lt_i32_e64 s[2:3], s58, v2
	v_mov_b32_e32 v32, 0
	s_and_saveexec_b64 s[4:5], s[2:3]
	s_cbranch_execz .LBB22_15
; %bb.14:                               ;   in Loop: Header=BB22_13 Depth=1
	v_add_u32_e32 v3, s59, v2
	v_sub_u32_e32 v5, 0, v3
	v_ashrrev_i32_e32 v4, 31, v3
	v_max_i32_e32 v3, v3, v5
	v_mul_hi_u32 v5, v3, v22
	v_mul_lo_u32 v6, v5, s61
	v_sub_u32_e32 v3, v3, v6
	v_add_u32_e32 v6, 1, v5
	v_cmp_le_u32_e64 s[2:3], s61, v3
	v_cndmask_b32_e64 v5, v5, v6, s[2:3]
	v_subrev_u32_e32 v6, s61, v3
	v_cndmask_b32_e64 v3, v3, v6, s[2:3]
	v_add_u32_e32 v6, 1, v5
	v_cmp_le_u32_e64 s[2:3], s61, v3
	v_xor_b32_e32 v4, s65, v4
	v_cndmask_b32_e64 v3, v5, v6, s[2:3]
	v_xor_b32_e32 v3, v3, v4
	v_sub_u32_e32 v3, v3, v4
	v_add_u32_e32 v32, 1, v3
.LBB22_15:                              ;   in Loop: Header=BB22_13 Depth=1
	s_or_b64 exec, exec, s[4:5]
	s_and_saveexec_b64 s[16:17], vcc
	s_cbranch_execz .LBB22_12
; %bb.16:                               ;   in Loop: Header=BB22_13 Depth=1
	v_sub_u32_e32 v4, 0, v2
	v_ashrrev_i32_e32 v3, 31, v2
	v_max_i32_e32 v2, v2, v4
	v_mul_hi_u32 v4, v2, v22
	v_mul_lo_u32 v5, v4, s61
	v_sub_u32_e32 v2, v2, v5
	v_add_u32_e32 v5, 1, v4
	v_cmp_le_u32_e64 s[2:3], s61, v2
	v_cndmask_b32_e64 v4, v4, v5, s[2:3]
	v_subrev_u32_e32 v5, s61, v2
	v_cndmask_b32_e64 v2, v2, v5, s[2:3]
	v_add_u32_e32 v5, 1, v4
	v_cmp_le_u32_e64 s[2:3], s61, v2
	v_xor_b32_e32 v3, s65, v3
	v_cndmask_b32_e64 v2, v4, v5, s[2:3]
	v_xor_b32_e32 v2, v2, v3
	v_sub_u32_e32 v2, v2, v3
	v_add_u32_e32 v2, 1, v2
	v_min_i32_e32 v33, s12, v2
	v_sub_u32_e32 v2, v33, v32
	v_cmp_gt_i32_e64 s[8:9], 3, v2
	v_mul_lo_u32 v2, v32, s23
	v_ashrrev_i32_e32 v3, 31, v2
	v_lshlrev_b64 v[4:5], 3, v[2:3]
	v_mov_b32_e32 v6, s55
	v_add_co_u32_e64 v3, s[4:5], s54, v4
	v_add_u32_e32 v8, 1, v32
	v_addc_co_u32_e64 v35, s[4:5], v6, v5, s[4:5]
	v_add_u32_e32 v6, s23, v2
	v_cmp_eq_u32_e64 s[6:7], v8, v33
	v_ashrrev_i32_e32 v7, 31, v6
	v_mul_lo_u32 v34, v18, s10
	v_cmp_gt_i32_e64 s[2:3], v33, v32
	v_cmp_lt_i32_e64 s[4:5], v8, v33
	v_mul_lo_u32 v36, s23, v8
	s_mov_b64 s[20:21], 0
	s_xor_b64 s[26:27], s[6:7], -1
	s_xor_b64 s[30:31], s[8:9], -1
	v_lshlrev_b64 v[6:7], 3, v[6:7]
	v_mov_b32_e32 v37, v20
	s_branch .LBB22_19
.LBB22_17:                              ;   in Loop: Header=BB22_19 Depth=2
	s_or_b64 exec, exec, s[34:35]
.LBB22_18:                              ;   in Loop: Header=BB22_19 Depth=2
	s_or_b64 exec, exec, s[8:9]
	v_add_u32_e32 v37, s52, v37
	v_cmp_ge_i32_e64 s[6:7], v37, v21
	s_or_b64 s[20:21], s[6:7], s[20:21]
	s_andn2_b64 exec, exec, s[20:21]
	s_cbranch_execz .LBB22_11
.LBB22_19:                              ;   Parent Loop BB22_13 Depth=1
                                        ; =>  This Loop Header: Depth=2
                                        ;       Child Loop BB22_28 Depth 3
                                        ;         Child Loop BB22_31 Depth 4
                                        ;           Child Loop BB22_34 Depth 5
                                        ;       Child Loop BB22_40 Depth 3
                                        ;       Child Loop BB22_51 Depth 3
	;; [unrolled: 1-line block ×3, first 2 shown]
	v_add_u32_e32 v8, s19, v37
	v_cmp_lt_i32_e64 s[6:7], s60, v8
	v_mov_b32_e32 v16, 0
	s_and_saveexec_b64 s[8:9], s[6:7]
	s_cbranch_execz .LBB22_21
; %bb.20:                               ;   in Loop: Header=BB22_19 Depth=2
	v_add_u32_e32 v9, s62, v8
	v_sub_u32_e32 v11, 0, v9
	v_ashrrev_i32_e32 v10, 31, v9
	v_max_i32_e32 v9, v9, v11
	v_mul_hi_u32 v11, v9, v23
	v_mul_lo_u32 v12, v11, s64
	v_sub_u32_e32 v9, v9, v12
	v_add_u32_e32 v12, 1, v11
	v_cmp_le_u32_e64 s[6:7], s64, v9
	v_cndmask_b32_e64 v11, v11, v12, s[6:7]
	v_subrev_u32_e32 v12, s64, v9
	v_cndmask_b32_e64 v9, v9, v12, s[6:7]
	v_add_u32_e32 v12, 1, v11
	v_cmp_le_u32_e64 s[6:7], s64, v9
	v_xor_b32_e32 v10, s66, v10
	v_cndmask_b32_e64 v9, v11, v12, s[6:7]
	v_xor_b32_e32 v9, v9, v10
	v_sub_u32_e32 v9, v9, v10
	v_add_u32_e32 v16, 1, v9
.LBB22_21:                              ;   in Loop: Header=BB22_19 Depth=2
	s_or_b64 exec, exec, s[8:9]
	v_sub_u32_e32 v10, 0, v8
	v_ashrrev_i32_e32 v9, 31, v8
	v_max_i32_e32 v8, v8, v10
	v_mul_hi_u32 v10, v8, v23
	v_mul_lo_u32 v11, v10, s64
	v_sub_u32_e32 v8, v8, v11
	v_add_u32_e32 v11, 1, v10
	v_cmp_le_u32_e64 s[6:7], s64, v8
	v_cndmask_b32_e64 v10, v10, v11, s[6:7]
	v_subrev_u32_e32 v11, s64, v8
	v_cndmask_b32_e64 v8, v8, v11, s[6:7]
	v_add_u32_e32 v11, 1, v10
	v_cmp_le_u32_e64 s[6:7], s64, v8
	v_xor_b32_e32 v9, s66, v9
	v_cndmask_b32_e64 v8, v10, v11, s[6:7]
	v_xor_b32_e32 v8, v8, v9
	v_sub_u32_e32 v8, v8, v9
	v_add_u32_e32 v8, 1, v8
	v_min_i32_e32 v17, s13, v8
	v_add_u32_e32 v10, 1, v16
	v_cmp_ne_u32_e64 s[6:7], v10, v17
	v_add_u32_e32 v8, v37, v34
	s_or_b64 s[6:7], s[26:27], s[6:7]
	s_and_saveexec_b64 s[8:9], s[6:7]
	s_xor_b64 s[34:35], exec, s[8:9]
	s_cbranch_execz .LBB22_53
; %bb.22:                               ;   in Loop: Header=BB22_19 Depth=2
	v_sub_u32_e32 v9, v17, v16
	v_cmp_lt_i32_e64 s[6:7], 2, v9
	s_or_b64 s[6:7], s[30:31], s[6:7]
	s_and_saveexec_b64 s[8:9], s[6:7]
	s_xor_b64 s[36:37], exec, s[8:9]
	s_cbranch_execnz .LBB22_25
; %bb.23:                               ;   in Loop: Header=BB22_19 Depth=2
	s_andn2_saveexec_b64 s[36:37], s[36:37]
	s_cbranch_execnz .LBB22_37
.LBB22_24:                              ;   in Loop: Header=BB22_19 Depth=2
	s_or_b64 exec, exec, s[36:37]
	s_and_saveexec_b64 s[8:9], s[0:1]
	s_cbranch_execnz .LBB22_50
	s_branch .LBB22_52
.LBB22_25:                              ;   in Loop: Header=BB22_19 Depth=2
	s_and_saveexec_b64 s[38:39], s[2:3]
	s_cbranch_execz .LBB22_36
; %bb.26:                               ;   in Loop: Header=BB22_19 Depth=2
	v_mad_u64_u32 v[10:11], s[8:9], s24, v16, v[2:3]
	v_cmp_gt_i32_e64 s[6:7], v17, v16
	v_ashrrev_i32_e32 v9, 31, v8
	s_mov_b64 s[40:41], 0
	v_mov_b32_e32 v11, v32
	s_branch .LBB22_28
.LBB22_27:                              ;   in Loop: Header=BB22_28 Depth=3
	s_or_b64 exec, exec, s[42:43]
	v_add_u32_e32 v11, 1, v11
	v_cmp_ge_i32_e64 s[8:9], v11, v33
	s_or_b64 s[40:41], s[8:9], s[40:41]
	v_add_u32_e32 v10, s23, v10
	s_andn2_b64 exec, exec, s[40:41]
	s_cbranch_execz .LBB22_36
.LBB22_28:                              ;   Parent Loop BB22_13 Depth=1
                                        ;     Parent Loop BB22_19 Depth=2
                                        ; =>    This Loop Header: Depth=3
                                        ;         Child Loop BB22_31 Depth 4
                                        ;           Child Loop BB22_34 Depth 5
	s_and_saveexec_b64 s[42:43], s[6:7]
	s_cbranch_execz .LBB22_27
; %bb.29:                               ;   in Loop: Header=BB22_28 Depth=3
	v_mul_lo_u32 v12, v11, s23
	v_ashrrev_i32_e32 v13, 31, v12
	v_lshlrev_b64 v[12:13], 3, v[12:13]
	v_mov_b32_e32 v14, s55
	v_add_co_u32_e64 v38, s[8:9], s54, v12
	v_addc_co_u32_e64 v39, s[8:9], v14, v13, s[8:9]
	s_mov_b64 s[44:45], 0
	v_mov_b32_e32 v40, v10
	v_mov_b32_e32 v41, v16
	s_branch .LBB22_31
.LBB22_30:                              ;   in Loop: Header=BB22_31 Depth=4
	s_or_b64 exec, exec, s[46:47]
	v_add_u32_e32 v41, 1, v41
	v_cmp_ge_i32_e64 s[8:9], v41, v17
	s_or_b64 s[44:45], s[8:9], s[44:45]
	v_add_u32_e32 v40, s24, v40
	s_andn2_b64 exec, exec, s[44:45]
	s_cbranch_execz .LBB22_27
.LBB22_31:                              ;   Parent Loop BB22_13 Depth=1
                                        ;     Parent Loop BB22_19 Depth=2
                                        ;       Parent Loop BB22_28 Depth=3
                                        ; =>      This Loop Header: Depth=4
                                        ;           Child Loop BB22_34 Depth 5
	s_and_saveexec_b64 s[46:47], s[0:1]
	s_cbranch_execz .LBB22_30
; %bb.32:                               ;   in Loop: Header=BB22_31 Depth=4
	v_mul_lo_u32 v12, v41, s24
	v_ashrrev_i32_e32 v13, 31, v12
	v_lshlrev_b64 v[12:13], 3, v[12:13]
	v_add_co_u32_e64 v42, s[8:9], v38, v12
	v_addc_co_u32_e64 v43, s[8:9], v39, v13, s[8:9]
	s_mov_b64 s[48:49], 0
	v_mov_b32_e32 v44, v26
	v_mov_b32_e32 v12, v25
	;; [unrolled: 1-line block ×3, first 2 shown]
	s_branch .LBB22_34
.LBB22_33:                              ;   in Loop: Header=BB22_34 Depth=5
	s_or_b64 exec, exec, s[50:51]
	v_ashrrev_i32_e32 v13, 31, v12
	v_cmp_le_i64_e64 s[8:9], s[28:29], v[12:13]
	v_add_u32_e32 v14, s22, v14
	v_add_u32_e32 v12, s63, v12
	s_or_b64 s[48:49], s[8:9], s[48:49]
	v_add_u32_e32 v44, s25, v44
	s_andn2_b64 exec, exec, s[48:49]
	s_cbranch_execz .LBB22_30
.LBB22_34:                              ;   Parent Loop BB22_13 Depth=1
                                        ;     Parent Loop BB22_19 Depth=2
                                        ;       Parent Loop BB22_28 Depth=3
                                        ;         Parent Loop BB22_31 Depth=4
                                        ; =>        This Inner Loop Header: Depth=5
	v_ashrrev_i32_e32 v15, 31, v14
	v_lshlrev_b64 v[46:47], 3, v[14:15]
	v_add_co_u32_e64 v46, s[8:9], v42, v46
	v_addc_co_u32_e64 v47, s[8:9], v43, v47, s[8:9]
	global_load_dwordx2 v[46:47], v[46:47], off
	s_waitcnt vmcnt(0)
	v_cmp_eq_u64_e64 s[8:9], v[46:47], v[8:9]
	s_and_saveexec_b64 s[50:51], s[8:9]
	s_cbranch_execz .LBB22_33
; %bb.35:                               ;   in Loop: Header=BB22_34 Depth=5
	v_add_u32_e32 v46, v40, v14
	v_ashrrev_i32_e32 v47, 31, v46
	v_lshlrev_b64 v[46:47], 1, v[46:47]
	v_mov_b32_e32 v13, s57
	v_add_co_u32_e64 v46, s[8:9], s56, v46
	v_addc_co_u32_e64 v47, s[8:9], v13, v47, s[8:9]
	global_load_ushort v13, v[46:47], off
	ds_read_b32 v15, v44
	s_waitcnt vmcnt(0)
	v_cvt_f32_f16_e32 v13, v13
	s_waitcnt lgkmcnt(0)
	v_add_f32_e32 v13, v15, v13
	ds_write_b32 v44, v13
	s_branch .LBB22_33
.LBB22_36:                              ;   in Loop: Header=BB22_19 Depth=2
	s_or_b64 exec, exec, s[38:39]
                                        ; implicit-def: $vgpr17
                                        ; implicit-def: $vgpr16
                                        ; implicit-def: $vgpr10
	s_andn2_saveexec_b64 s[36:37], s[36:37]
	s_cbranch_execz .LBB22_24
.LBB22_37:                              ;   in Loop: Header=BB22_19 Depth=2
	s_and_saveexec_b64 s[38:39], s[0:1]
	s_cbranch_execz .LBB22_49
; %bb.38:                               ;   in Loop: Header=BB22_19 Depth=2
	v_mul_lo_u32 v12, v16, s24
	v_add_u32_e32 v14, s24, v12
	v_cmp_gt_i32_e64 s[6:7], v17, v16
	v_ashrrev_i32_e32 v13, 31, v12
	v_cmp_lt_i32_e64 s[8:9], v10, v17
	v_ashrrev_i32_e32 v15, 31, v14
	v_not_b32_e32 v9, v8
	s_and_b64 s[40:41], s[2:3], s[6:7]
	s_and_b64 s[42:43], s[2:3], s[8:9]
	;; [unrolled: 1-line block ×4, first 2 shown]
	v_add_u32_e32 v38, v36, v14
	v_add_u32_e32 v39, v36, v12
	;; [unrolled: 1-line block ×4, first 2 shown]
	s_mov_b64 s[46:47], 0
	v_lshlrev_b64 v[10:11], 3, v[12:13]
	v_lshlrev_b64 v[12:13], 3, v[14:15]
	v_mov_b32_e32 v42, v26
	v_mov_b32_e32 v14, v25
	;; [unrolled: 1-line block ×3, first 2 shown]
	s_branch .LBB22_40
.LBB22_39:                              ;   in Loop: Header=BB22_40 Depth=3
	s_or_b64 exec, exec, s[48:49]
	s_waitcnt vmcnt(0)
	v_cvt_f32_f16_e32 v45, v31
	v_cvt_f32_f16_e32 v46, v30
	v_cmp_eq_u32_e64 s[6:7], v15, v8
	v_cvt_f32_f16_e32 v47, v29
	v_add_f32_e32 v45, 0, v45
	v_cndmask_b32_e64 v15, 0, v45, s[6:7]
	v_add_f32_e32 v45, v15, v46
	v_cmp_eq_u32_e64 s[6:7], v17, v8
	v_cndmask_b32_e64 v15, v15, v45, s[6:7]
	v_cvt_f32_f16_e32 v45, v28
	ds_read_b32 v46, v42
	v_add_f32_e32 v17, v15, v47
	v_cmp_eq_u32_e64 s[6:7], v43, v8
	v_cndmask_b32_e64 v15, v15, v17, s[6:7]
	v_add_f32_e32 v17, v15, v45
	v_cmp_eq_u32_e64 s[6:7], v44, v8
	v_cndmask_b32_e64 v15, v15, v17, s[6:7]
	s_waitcnt lgkmcnt(0)
	v_add_f32_e32 v15, v15, v46
	ds_write_b32 v42, v15
	v_ashrrev_i32_e32 v15, 31, v14
	v_cmp_le_i64_e64 s[6:7], s[28:29], v[14:15]
	v_add_u32_e32 v16, s22, v16
	v_add_u32_e32 v14, s63, v14
	s_or_b64 s[46:47], s[6:7], s[46:47]
	v_add_u32_e32 v42, s25, v42
	s_andn2_b64 exec, exec, s[46:47]
	s_cbranch_execz .LBB22_48
.LBB22_40:                              ;   Parent Loop BB22_13 Depth=1
                                        ;     Parent Loop BB22_19 Depth=2
                                        ; =>    This Inner Loop Header: Depth=3
	v_ashrrev_i32_e32 v17, 31, v16
	v_lshlrev_b64 v[44:45], 3, v[16:17]
	v_mov_b32_e32 v15, s55
	v_add_co_u32_e64 v43, s[6:7], s54, v44
	v_addc_co_u32_e64 v44, s[6:7], v15, v45, s[6:7]
	v_add_co_u32_e64 v45, s[6:7], v43, v4
	v_addc_co_u32_e64 v46, s[6:7], v44, v5, s[6:7]
	v_mov_b32_e32 v15, v9
	s_and_saveexec_b64 s[48:49], s[40:41]
	s_cbranch_execz .LBB22_42
; %bb.41:                               ;   in Loop: Header=BB22_40 Depth=3
	v_add_co_u32_e64 v48, s[6:7], v45, v10
	v_addc_co_u32_e64 v49, s[6:7], v46, v11, s[6:7]
	global_load_dword v15, v[48:49], off
	v_add_u32_e32 v48, v41, v16
	v_ashrrev_i32_e32 v49, 31, v48
	v_lshlrev_b64 v[48:49], 1, v[48:49]
	v_mov_b32_e32 v17, s57
	v_add_co_u32_e64 v48, s[6:7], s56, v48
	v_addc_co_u32_e64 v49, s[6:7], v17, v49, s[6:7]
	global_load_ushort v31, v[48:49], off
.LBB22_42:                              ;   in Loop: Header=BB22_40 Depth=3
	s_or_b64 exec, exec, s[48:49]
	v_mov_b32_e32 v17, v9
	s_and_saveexec_b64 s[48:49], s[42:43]
	s_cbranch_execz .LBB22_44
; %bb.43:                               ;   in Loop: Header=BB22_40 Depth=3
	v_add_co_u32_e64 v48, s[6:7], v45, v12
	v_addc_co_u32_e64 v49, s[6:7], v46, v13, s[6:7]
	v_add_u32_e32 v46, v40, v16
	v_ashrrev_i32_e32 v47, 31, v46
	v_lshlrev_b64 v[46:47], 1, v[46:47]
	v_mov_b32_e32 v30, s57
	v_add_co_u32_e64 v46, s[6:7], s56, v46
	v_addc_co_u32_e64 v47, s[6:7], v30, v47, s[6:7]
	global_load_dword v17, v[48:49], off
	global_load_ushort v30, v[46:47], off
.LBB22_44:                              ;   in Loop: Header=BB22_40 Depth=3
	s_or_b64 exec, exec, s[48:49]
	v_add_co_u32_e64 v45, s[6:7], v43, v6
	v_addc_co_u32_e64 v46, s[6:7], v44, v7, s[6:7]
	v_mov_b32_e32 v43, v9
	s_and_saveexec_b64 s[48:49], s[44:45]
	s_cbranch_execz .LBB22_46
; %bb.45:                               ;   in Loop: Header=BB22_40 Depth=3
	v_add_co_u32_e64 v48, s[6:7], v45, v10
	v_addc_co_u32_e64 v49, s[6:7], v46, v11, s[6:7]
	global_load_dword v43, v[48:49], off
	v_add_u32_e32 v48, v39, v16
	v_ashrrev_i32_e32 v49, 31, v48
	v_lshlrev_b64 v[48:49], 1, v[48:49]
	v_mov_b32_e32 v29, s57
	v_add_co_u32_e64 v48, s[6:7], s56, v48
	v_addc_co_u32_e64 v49, s[6:7], v29, v49, s[6:7]
	global_load_ushort v29, v[48:49], off
.LBB22_46:                              ;   in Loop: Header=BB22_40 Depth=3
	s_or_b64 exec, exec, s[48:49]
	v_mov_b32_e32 v44, v9
	s_and_saveexec_b64 s[48:49], s[8:9]
	s_cbranch_execz .LBB22_39
; %bb.47:                               ;   in Loop: Header=BB22_40 Depth=3
	v_add_co_u32_e64 v44, s[6:7], v45, v12
	v_addc_co_u32_e64 v45, s[6:7], v46, v13, s[6:7]
	v_add_u32_e32 v46, v38, v16
	v_ashrrev_i32_e32 v47, 31, v46
	v_lshlrev_b64 v[46:47], 1, v[46:47]
	v_mov_b32_e32 v28, s57
	v_add_co_u32_e64 v46, s[6:7], s56, v46
	v_addc_co_u32_e64 v47, s[6:7], v28, v47, s[6:7]
	global_load_dword v44, v[44:45], off
	s_nop 0
	global_load_ushort v28, v[46:47], off
	s_branch .LBB22_39
.LBB22_48:                              ;   in Loop: Header=BB22_19 Depth=2
	s_or_b64 exec, exec, s[46:47]
.LBB22_49:                              ;   in Loop: Header=BB22_19 Depth=2
	s_or_b64 exec, exec, s[38:39]
	s_or_b64 exec, exec, s[36:37]
	s_and_saveexec_b64 s[8:9], s[0:1]
	s_cbranch_execz .LBB22_52
.LBB22_50:                              ;   in Loop: Header=BB22_19 Depth=2
	v_ashrrev_i32_e32 v9, 31, v8
	v_mul_lo_u32 v10, v8, s29
	v_mul_lo_u32 v11, v9, s28
	v_mad_u64_u32 v[8:9], s[6:7], v8, s28, 0
	v_add3_u32 v9, v9, v10, v11
	v_lshlrev_b64 v[8:9], 1, v[8:9]
	v_mov_b32_e32 v10, s53
	v_add_co_u32_e64 v12, s[6:7], s11, v8
	v_addc_co_u32_e64 v13, s[6:7], v10, v9, s[6:7]
	s_mov_b64 s[36:37], 0
	v_mov_b32_e32 v14, v26
	v_mov_b32_e32 v8, v25
	v_pk_mov_b32 v[10:11], v[0:1], v[0:1] op_sel:[0,1]
.LBB22_51:                              ;   Parent Loop BB22_13 Depth=1
                                        ;     Parent Loop BB22_19 Depth=2
                                        ; =>    This Inner Loop Header: Depth=3
	ds_read_b32 v15, v14
	v_lshlrev_b64 v[10:11], 1, v[10:11]
	v_add_co_u32_e64 v16, s[6:7], v12, v10
	v_ashrrev_i32_e32 v9, 31, v8
	s_waitcnt lgkmcnt(0)
	v_cvt_f16_f32_e32 v15, v15
	v_addc_co_u32_e64 v17, s[6:7], v13, v11, s[6:7]
	v_cmp_le_i64_e64 s[6:7], s[28:29], v[8:9]
	ds_write_b32 v14, v27
	v_add_u32_e32 v14, s25, v14
	v_pk_mov_b32 v[10:11], v[8:9], v[8:9] op_sel:[0,1]
	v_add_u32_e32 v8, s63, v8
	s_or_b64 s[36:37], s[6:7], s[36:37]
	global_store_short v[16:17], v15, off
	s_andn2_b64 exec, exec, s[36:37]
	s_cbranch_execnz .LBB22_51
.LBB22_52:                              ;   in Loop: Header=BB22_19 Depth=2
	s_or_b64 exec, exec, s[8:9]
                                        ; implicit-def: $vgpr16
                                        ; implicit-def: $vgpr8
.LBB22_53:                              ;   in Loop: Header=BB22_19 Depth=2
	s_andn2_saveexec_b64 s[8:9], s[34:35]
	s_cbranch_execz .LBB22_18
; %bb.54:                               ;   in Loop: Header=BB22_19 Depth=2
	s_and_saveexec_b64 s[34:35], s[0:1]
	s_cbranch_execz .LBB22_17
; %bb.55:                               ;   in Loop: Header=BB22_19 Depth=2
	v_mul_lo_u32 v10, v16, s24
	v_ashrrev_i32_e32 v11, 31, v10
	v_lshlrev_b64 v[12:13], 3, v[10:11]
	v_add_co_u32_e64 v16, s[6:7], v3, v12
	v_ashrrev_i32_e32 v9, 31, v8
	v_addc_co_u32_e64 v17, s[6:7], v35, v13, s[6:7]
	v_mul_lo_u32 v11, v8, s29
	v_mul_lo_u32 v14, v9, s28
	v_mad_u64_u32 v[12:13], s[6:7], v8, s28, 0
	v_add3_u32 v13, v13, v11, v14
	v_lshlrev_b64 v[12:13], 1, v[12:13]
	v_mov_b32_e32 v11, s53
	v_add_co_u32_e64 v38, s[6:7], s11, v12
	v_addc_co_u32_e64 v39, s[6:7], v11, v13, s[6:7]
	v_add_u32_e32 v40, v10, v2
	s_mov_b64 s[36:37], 0
	v_mov_b32_e32 v10, v25
	v_mov_b32_e32 v12, v24
	v_pk_mov_b32 v[14:15], v[0:1], v[0:1] op_sel:[0,1]
	s_branch .LBB22_57
.LBB22_56:                              ;   in Loop: Header=BB22_57 Depth=3
	s_or_b64 exec, exec, s[38:39]
	v_ashrrev_i32_e32 v11, 31, v10
	v_cmp_le_i64_e64 s[6:7], s[28:29], v[10:11]
	v_pk_mov_b32 v[14:15], v[10:11], v[10:11] op_sel:[0,1]
	v_add_u32_e32 v12, s22, v12
	s_or_b64 s[36:37], s[6:7], s[36:37]
	v_add_u32_e32 v10, s63, v10
	s_andn2_b64 exec, exec, s[36:37]
	s_cbranch_execz .LBB22_17
.LBB22_57:                              ;   Parent Loop BB22_13 Depth=1
                                        ;     Parent Loop BB22_19 Depth=2
                                        ; =>    This Inner Loop Header: Depth=3
	v_ashrrev_i32_e32 v13, 31, v12
	v_lshlrev_b64 v[42:43], 3, v[12:13]
	v_add_co_u32_e64 v42, s[6:7], v16, v42
	v_addc_co_u32_e64 v43, s[6:7], v17, v43, s[6:7]
	global_load_dwordx2 v[42:43], v[42:43], off
	s_waitcnt vmcnt(0)
	v_cmp_eq_u64_e64 s[6:7], v[42:43], v[8:9]
	s_and_saveexec_b64 s[38:39], s[6:7]
	s_cbranch_execz .LBB22_56
; %bb.58:                               ;   in Loop: Header=BB22_57 Depth=3
	v_add_u32_e32 v42, v40, v12
	v_ashrrev_i32_e32 v43, 31, v42
	v_lshlrev_b64 v[42:43], 1, v[42:43]
	v_mov_b32_e32 v11, s57
	v_add_co_u32_e64 v42, s[6:7], s56, v42
	v_addc_co_u32_e64 v43, s[6:7], v11, v43, s[6:7]
	global_load_ushort v11, v[42:43], off
	v_lshlrev_b64 v[14:15], 1, v[14:15]
	v_add_co_u32_e64 v14, s[6:7], v38, v14
	v_addc_co_u32_e64 v15, s[6:7], v39, v15, s[6:7]
	s_waitcnt vmcnt(0)
	global_store_short v[14:15], v11, off
	s_branch .LBB22_56
.LBB22_59:
	s_endpgm
.LBB22_60:
                                        ; implicit-def: $sgpr2_sgpr3
	s_andn2_b64 vcc, exec, s[34:35]
	s_cbranch_vccz .LBB22_5
	s_branch .LBB22_6
.LBB22_61:
                                        ; implicit-def: $sgpr36_sgpr37
	s_andn2_b64 vcc, exec, s[34:35]
	s_cbranch_vccz .LBB22_8
	s_branch .LBB22_9
	.section	.rodata,"a",@progbits
	.p2align	6, 0x0
	.amdhsa_kernel _ZN2at6native12_GLOBAL__N_122max_pool_backward_nhwcIN3c104HalfEfEEvPKT_PKlillliiiiiiiiiiiiiiiPS5_
		.amdhsa_group_segment_fixed_size 0
		.amdhsa_private_segment_fixed_size 0
		.amdhsa_kernarg_size 376
		.amdhsa_user_sgpr_count 6
		.amdhsa_user_sgpr_private_segment_buffer 1
		.amdhsa_user_sgpr_dispatch_ptr 0
		.amdhsa_user_sgpr_queue_ptr 0
		.amdhsa_user_sgpr_kernarg_segment_ptr 1
		.amdhsa_user_sgpr_dispatch_id 0
		.amdhsa_user_sgpr_flat_scratch_init 0
		.amdhsa_user_sgpr_kernarg_preload_length 0
		.amdhsa_user_sgpr_kernarg_preload_offset 0
		.amdhsa_user_sgpr_private_segment_size 0
		.amdhsa_uses_dynamic_stack 0
		.amdhsa_system_sgpr_private_segment_wavefront_offset 0
		.amdhsa_system_sgpr_workgroup_id_x 1
		.amdhsa_system_sgpr_workgroup_id_y 1
		.amdhsa_system_sgpr_workgroup_id_z 1
		.amdhsa_system_sgpr_workgroup_info 0
		.amdhsa_system_vgpr_workitem_id 2
		.amdhsa_next_free_vgpr 50
		.amdhsa_next_free_sgpr 67
		.amdhsa_accum_offset 52
		.amdhsa_reserve_vcc 1
		.amdhsa_reserve_flat_scratch 0
		.amdhsa_float_round_mode_32 0
		.amdhsa_float_round_mode_16_64 0
		.amdhsa_float_denorm_mode_32 3
		.amdhsa_float_denorm_mode_16_64 3
		.amdhsa_dx10_clamp 1
		.amdhsa_ieee_mode 1
		.amdhsa_fp16_overflow 0
		.amdhsa_tg_split 0
		.amdhsa_exception_fp_ieee_invalid_op 0
		.amdhsa_exception_fp_denorm_src 0
		.amdhsa_exception_fp_ieee_div_zero 0
		.amdhsa_exception_fp_ieee_overflow 0
		.amdhsa_exception_fp_ieee_underflow 0
		.amdhsa_exception_fp_ieee_inexact 0
		.amdhsa_exception_int_div_zero 0
	.end_amdhsa_kernel
	.section	.text._ZN2at6native12_GLOBAL__N_122max_pool_backward_nhwcIN3c104HalfEfEEvPKT_PKlillliiiiiiiiiiiiiiiPS5_,"axG",@progbits,_ZN2at6native12_GLOBAL__N_122max_pool_backward_nhwcIN3c104HalfEfEEvPKT_PKlillliiiiiiiiiiiiiiiPS5_,comdat
.Lfunc_end22:
	.size	_ZN2at6native12_GLOBAL__N_122max_pool_backward_nhwcIN3c104HalfEfEEvPKT_PKlillliiiiiiiiiiiiiiiPS5_, .Lfunc_end22-_ZN2at6native12_GLOBAL__N_122max_pool_backward_nhwcIN3c104HalfEfEEvPKT_PKlillliiiiiiiiiiiiiiiPS5_
                                        ; -- End function
	.section	.AMDGPU.csdata,"",@progbits
; Kernel info:
; codeLenInByte = 4436
; NumSgprs: 71
; NumVgprs: 50
; NumAgprs: 0
; TotalNumVgprs: 50
; ScratchSize: 0
; MemoryBound: 0
; FloatMode: 240
; IeeeMode: 1
; LDSByteSize: 0 bytes/workgroup (compile time only)
; SGPRBlocks: 8
; VGPRBlocks: 6
; NumSGPRsForWavesPerEU: 71
; NumVGPRsForWavesPerEU: 50
; AccumOffset: 52
; Occupancy: 8
; WaveLimiterHint : 0
; COMPUTE_PGM_RSRC2:SCRATCH_EN: 0
; COMPUTE_PGM_RSRC2:USER_SGPR: 6
; COMPUTE_PGM_RSRC2:TRAP_HANDLER: 0
; COMPUTE_PGM_RSRC2:TGID_X_EN: 1
; COMPUTE_PGM_RSRC2:TGID_Y_EN: 1
; COMPUTE_PGM_RSRC2:TGID_Z_EN: 1
; COMPUTE_PGM_RSRC2:TIDIG_COMP_CNT: 2
; COMPUTE_PGM_RSRC3_GFX90A:ACCUM_OFFSET: 12
; COMPUTE_PGM_RSRC3_GFX90A:TG_SPLIT: 0
	.section	.text._ZN2at6native12_GLOBAL__N_122max_pool_backward_nchwIN3c104HalfEfiEEvPKT_PKlT1_SA_SA_SA_SA_SA_iiiiiiiiPS5_,"axG",@progbits,_ZN2at6native12_GLOBAL__N_122max_pool_backward_nchwIN3c104HalfEfiEEvPKT_PKlT1_SA_SA_SA_SA_SA_iiiiiiiiPS5_,comdat
	.globl	_ZN2at6native12_GLOBAL__N_122max_pool_backward_nchwIN3c104HalfEfiEEvPKT_PKlT1_SA_SA_SA_SA_SA_iiiiiiiiPS5_ ; -- Begin function _ZN2at6native12_GLOBAL__N_122max_pool_backward_nchwIN3c104HalfEfiEEvPKT_PKlT1_SA_SA_SA_SA_SA_iiiiiiiiPS5_
	.p2align	8
	.type	_ZN2at6native12_GLOBAL__N_122max_pool_backward_nchwIN3c104HalfEfiEEvPKT_PKlT1_SA_SA_SA_SA_SA_iiiiiiiiPS5_,@function
_ZN2at6native12_GLOBAL__N_122max_pool_backward_nchwIN3c104HalfEfiEEvPKT_PKlT1_SA_SA_SA_SA_SA_iiiiiiiiPS5_: ; @_ZN2at6native12_GLOBAL__N_122max_pool_backward_nchwIN3c104HalfEfiEEvPKT_PKlT1_SA_SA_SA_SA_SA_iiiiiiiiPS5_
; %bb.0:
	s_load_dword s0, s[4:5], 0x5c
	s_load_dwordx8 s[12:19], s[4:5], 0x10
	s_add_u32 s10, s4, 0x50
	s_addc_u32 s11, s5, 0
	v_mov_b32_e32 v1, 0
	s_waitcnt lgkmcnt(0)
	s_and_b32 s0, s0, 0xffff
	v_mov_b32_e32 v2, s6
	s_mul_i32 s28, s15, s14
	v_mad_u64_u32 v[0:1], s[2:3], s0, v2, v[0:1]
	s_ashr_i32 s29, s28, 31
	v_cmp_gt_i64_e32 vcc, s[28:29], v[0:1]
	s_and_saveexec_b64 s[2:3], vcc
	s_cbranch_execz .LBB23_23
; %bb.1:
	s_load_dwordx8 s[20:27], s[4:5], 0x30
	s_load_dword s1, s[10:11], 0x0
	s_add_i32 s6, s18, -1
	s_add_i32 s9, s19, -1
	s_mul_i32 s53, s17, s16
	s_waitcnt lgkmcnt(0)
	s_mul_i32 s6, s6, s24
	s_mul_i32 s9, s9, s25
	s_not_b32 s14, s6
	s_not_b32 s33, s9
	s_cmp_lt_i32 s7, s12
	s_cselect_b64 s[2:3], -1, 0
	s_cmp_lt_i32 s8, s13
	s_cselect_b64 s[18:19], -1, 0
	s_abs_i32 s44, s15
	v_cvt_f32_u32_e32 v2, s44
	s_abs_i32 s48, s20
	v_cvt_f32_u32_e32 v3, s48
	s_mul_i32 s45, s1, s0
	v_rcp_iflag_f32_e32 v2, v2
	s_sub_i32 s0, 0, s44
	s_abs_i32 s49, s21
	v_rcp_iflag_f32_e32 v5, v3
	v_mul_f32_e32 v2, 0x4f7ffffe, v2
	v_cvt_u32_f32_e32 v2, v2
	s_load_dwordx4 s[24:27], s[4:5], 0x0
	s_load_dwordx2 s[30:31], s[4:5], 0x48
	s_mov_b32 s46, 0
	s_ashr_i32 s47, s15, 31
	v_mul_lo_u32 v4, s0, v2
	v_mul_hi_u32 v4, v2, v4
	v_add_u32_e32 v3, v2, v4
	v_cvt_f32_u32_e32 v2, s49
	v_mul_f32_e32 v4, 0x4f7ffffe, v5
	v_cvt_u32_f32_e32 v4, v4
	s_sub_i32 s0, 0, s48
	v_rcp_iflag_f32_e32 v2, v2
	s_ashr_i32 s50, s20, 31
	v_mul_lo_u32 v5, s0, v4
	v_mul_hi_u32 v5, v4, v5
	v_mul_f32_e32 v2, 0x4f7ffffe, v2
	v_cvt_u32_f32_e32 v2, v2
	s_sub_i32 s0, 0, s49
	v_add_u32_e32 v10, v4, v5
	s_ashr_i32 s51, s21, 31
	v_mul_lo_u32 v4, s0, v2
	v_mul_hi_u32 v4, v2, v4
	s_mul_i32 s0, s7, s13
	v_add_u32_e32 v11, v2, v4
	s_add_i32 s0, s8, s0
	v_cndmask_b32_e64 v2, 0, 1, s[2:3]
	s_mul_i32 s52, s16, s0
	s_mul_i32 s54, s53, s13
	s_mov_b64 s[20:21], 0
	v_cmp_ne_u32_e64 s[0:1], 1, v2
	s_branch .LBB23_3
.LBB23_2:                               ;   in Loop: Header=BB23_3 Depth=1
	v_mov_b32_e32 v2, s46
	v_add_co_u32_e32 v0, vcc, s45, v0
	v_addc_co_u32_e32 v1, vcc, v1, v2, vcc
	v_cmp_le_i64_e32 vcc, s[28:29], v[0:1]
	s_or_b64 s[20:21], vcc, s[20:21]
	s_andn2_b64 exec, exec, s[20:21]
	s_cbranch_execz .LBB23_23
.LBB23_3:                               ; =>This Loop Header: Depth=1
                                        ;     Child Loop BB23_10 Depth 2
                                        ;       Child Loop BB23_14 Depth 3
                                        ;         Child Loop BB23_18 Depth 4
                                        ;           Child Loop BB23_21 Depth 5
	v_sub_u32_e32 v4, 0, v0
	v_max_i32_e32 v4, v0, v4
	v_mul_hi_u32 v5, v4, v3
	v_mul_lo_u32 v6, v5, s44
	v_sub_u32_e32 v4, v4, v6
	v_add_u32_e32 v6, 1, v5
	v_cmp_le_u32_e32 vcc, s44, v4
	v_cndmask_b32_e32 v5, v5, v6, vcc
	v_subrev_u32_e32 v6, s44, v4
	v_cndmask_b32_e32 v4, v4, v6, vcc
	v_ashrrev_i32_e32 v2, 31, v0
	v_add_u32_e32 v6, 1, v5
	v_cmp_le_u32_e32 vcc, s44, v4
	v_xor_b32_e32 v2, s47, v2
	v_cndmask_b32_e32 v4, v5, v6, vcc
	v_xor_b32_e32 v4, v4, v2
	v_sub_u32_e32 v5, v4, v2
	v_add_u32_e32 v4, s22, v5
	v_cmp_lt_i32_e32 vcc, s6, v4
	v_mov_b32_e32 v2, 0
	v_mov_b32_e32 v12, 0
	s_and_saveexec_b64 s[2:3], vcc
	s_cbranch_execz .LBB23_5
; %bb.4:                                ;   in Loop: Header=BB23_3 Depth=1
	v_add_u32_e32 v6, s14, v4
	v_sub_u32_e32 v8, 0, v6
	v_ashrrev_i32_e32 v7, 31, v6
	v_max_i32_e32 v6, v6, v8
	v_mul_hi_u32 v8, v6, v10
	v_mul_lo_u32 v9, v8, s48
	v_sub_u32_e32 v6, v6, v9
	v_add_u32_e32 v9, 1, v8
	v_cmp_le_u32_e32 vcc, s48, v6
	v_cndmask_b32_e32 v8, v8, v9, vcc
	v_subrev_u32_e32 v9, s48, v6
	v_cndmask_b32_e32 v6, v6, v9, vcc
	v_add_u32_e32 v9, 1, v8
	v_cmp_le_u32_e32 vcc, s48, v6
	v_xor_b32_e32 v7, s50, v7
	v_cndmask_b32_e32 v6, v8, v9, vcc
	v_xor_b32_e32 v6, v6, v7
	v_sub_u32_e32 v6, v6, v7
	v_add_u32_e32 v12, 1, v6
.LBB23_5:                               ;   in Loop: Header=BB23_3 Depth=1
	s_or_b64 exec, exec, s[2:3]
	v_mul_lo_u32 v5, v5, s15
	v_sub_u32_e32 v5, v0, v5
	v_add_u32_e32 v5, s23, v5
	v_cmp_lt_i32_e32 vcc, s9, v5
	s_and_saveexec_b64 s[2:3], vcc
	s_cbranch_execz .LBB23_7
; %bb.6:                                ;   in Loop: Header=BB23_3 Depth=1
	v_add_u32_e32 v2, s33, v5
	v_sub_u32_e32 v7, 0, v2
	v_ashrrev_i32_e32 v6, 31, v2
	v_max_i32_e32 v2, v2, v7
	v_mul_hi_u32 v7, v2, v11
	v_mul_lo_u32 v8, v7, s49
	v_sub_u32_e32 v2, v2, v8
	v_add_u32_e32 v8, 1, v7
	v_cmp_le_u32_e32 vcc, s49, v2
	v_cndmask_b32_e32 v7, v7, v8, vcc
	v_subrev_u32_e32 v8, s49, v2
	v_cndmask_b32_e32 v2, v2, v8, vcc
	v_add_u32_e32 v8, 1, v7
	v_cmp_le_u32_e32 vcc, s49, v2
	v_xor_b32_e32 v6, s51, v6
	v_cndmask_b32_e32 v2, v7, v8, vcc
	v_xor_b32_e32 v2, v2, v6
	v_sub_u32_e32 v2, v2, v6
	v_add_u32_e32 v2, 1, v2
.LBB23_7:                               ;   in Loop: Header=BB23_3 Depth=1
	s_or_b64 exec, exec, s[2:3]
	s_and_b64 vcc, exec, s[0:1]
	s_cbranch_vccnz .LBB23_2
; %bb.8:                                ;   in Loop: Header=BB23_3 Depth=1
	v_sub_u32_e32 v7, 0, v5
	v_ashrrev_i32_e32 v6, 31, v5
	v_max_i32_e32 v5, v5, v7
	v_mul_hi_u32 v7, v5, v11
	v_mul_lo_u32 v8, v7, s49
	v_sub_u32_e32 v5, v5, v8
	v_add_u32_e32 v8, 1, v7
	v_cmp_le_u32_e32 vcc, s49, v5
	v_cndmask_b32_e32 v7, v7, v8, vcc
	v_subrev_u32_e32 v8, s49, v5
	v_cndmask_b32_e32 v5, v5, v8, vcc
	v_add_u32_e32 v8, 1, v7
	v_cmp_le_u32_e32 vcc, s49, v5
	v_xor_b32_e32 v6, s51, v6
	v_cndmask_b32_e32 v5, v7, v8, vcc
	v_xor_b32_e32 v5, v5, v6
	v_sub_u32_e32 v5, v5, v6
	v_add_u32_e32 v5, 1, v5
	v_sub_u32_e32 v6, 0, v4
	v_min_i32_e32 v13, s17, v5
	v_ashrrev_i32_e32 v5, 31, v4
	v_max_i32_e32 v4, v4, v6
	v_mul_hi_u32 v6, v4, v10
	v_mul_lo_u32 v7, v6, s48
	v_sub_u32_e32 v4, v4, v7
	v_add_u32_e32 v7, 1, v6
	v_cmp_le_u32_e32 vcc, s48, v4
	v_cndmask_b32_e32 v6, v6, v7, vcc
	v_subrev_u32_e32 v7, s48, v4
	v_cndmask_b32_e32 v4, v4, v7, vcc
	v_add_u32_e32 v7, 1, v6
	v_cmp_le_u32_e32 vcc, s48, v4
	v_xor_b32_e32 v5, s50, v5
	v_cndmask_b32_e32 v4, v6, v7, vcc
	s_load_dword s55, s[10:11], 0x4
	v_xor_b32_e32 v4, v4, v5
	v_sub_u32_e32 v4, v4, v5
	v_add_u32_e32 v4, 1, v4
	v_min_i32_e32 v14, s16, v4
	v_add_u32_e32 v6, s52, v12
	v_cmp_lt_i32_e64 s[2:3], v12, v14
	v_cmp_lt_i32_e64 s[4:5], v2, v13
	v_ashrrev_i32_e32 v5, 31, v0
	v_mov_b32_e32 v4, v0
	v_mad_u64_u32 v[6:7], s[34:35], s17, v6, v[2:3]
	s_waitcnt lgkmcnt(0)
	s_mul_i32 s56, s54, s55
	s_mov_b32 s57, s7
	s_branch .LBB23_10
.LBB23_9:                               ;   in Loop: Header=BB23_10 Depth=2
	s_add_i32 s57, s55, s57
	s_cmp_ge_i32 s57, s12
	v_add_u32_e32 v6, s56, v6
	s_cbranch_scc1 .LBB23_2
.LBB23_10:                              ;   Parent Loop BB23_3 Depth=1
                                        ; =>  This Loop Header: Depth=2
                                        ;       Child Loop BB23_14 Depth 3
                                        ;         Child Loop BB23_18 Depth 4
                                        ;           Child Loop BB23_21 Depth 5
	s_andn2_b64 vcc, exec, s[18:19]
	s_cbranch_vccnz .LBB23_9
; %bb.11:                               ;   in Loop: Header=BB23_10 Depth=2
	s_load_dword s58, s[10:11], 0x8
	s_mul_i32 s59, s57, s13
	v_mov_b32_e32 v7, v6
	s_mov_b32 s61, s8
	s_waitcnt lgkmcnt(0)
	s_mul_i32 s60, s53, s58
	s_branch .LBB23_14
.LBB23_12:                              ;   in Loop: Header=BB23_14 Depth=3
	s_or_b64 exec, exec, s[36:37]
.LBB23_13:                              ;   in Loop: Header=BB23_14 Depth=3
	s_or_b64 exec, exec, s[34:35]
	s_add_i32 s34, s61, s59
	s_mul_i32 s34, s28, s34
	v_add_u32_e32 v8, s34, v0
	v_cvt_f16_f32_e32 v15, v15
	v_ashrrev_i32_e32 v9, 31, v8
	v_lshlrev_b64 v[8:9], 1, v[8:9]
	v_mov_b32_e32 v16, s31
	v_add_co_u32_e32 v8, vcc, s30, v8
	s_add_i32 s61, s58, s61
	v_addc_co_u32_e32 v9, vcc, v16, v9, vcc
	s_cmp_ge_i32 s61, s13
	v_add_u32_e32 v7, s60, v7
	global_store_short v[8:9], v15, off
	s_cbranch_scc1 .LBB23_9
.LBB23_14:                              ;   Parent Loop BB23_3 Depth=1
                                        ;     Parent Loop BB23_10 Depth=2
                                        ; =>    This Loop Header: Depth=3
                                        ;         Child Loop BB23_18 Depth 4
                                        ;           Child Loop BB23_21 Depth 5
	v_mov_b32_e32 v15, 0
	s_and_saveexec_b64 s[34:35], s[2:3]
	s_cbranch_execz .LBB23_13
; %bb.15:                               ;   in Loop: Header=BB23_14 Depth=3
	s_mov_b64 s[36:37], 0
	v_mov_b32_e32 v15, 0
	v_mov_b32_e32 v16, v7
	;; [unrolled: 1-line block ×3, first 2 shown]
	s_branch .LBB23_18
.LBB23_16:                              ;   in Loop: Header=BB23_18 Depth=4
	s_or_b64 exec, exec, s[40:41]
.LBB23_17:                              ;   in Loop: Header=BB23_18 Depth=4
	s_or_b64 exec, exec, s[38:39]
	v_add_u32_e32 v17, 1, v17
	v_cmp_ge_i32_e32 vcc, v17, v14
	s_or_b64 s[36:37], vcc, s[36:37]
	v_add_u32_e32 v16, s17, v16
	s_andn2_b64 exec, exec, s[36:37]
	s_cbranch_execz .LBB23_12
.LBB23_18:                              ;   Parent Loop BB23_3 Depth=1
                                        ;     Parent Loop BB23_10 Depth=2
                                        ;       Parent Loop BB23_14 Depth=3
                                        ; =>      This Loop Header: Depth=4
                                        ;           Child Loop BB23_21 Depth 5
	s_and_saveexec_b64 s[38:39], s[4:5]
	s_cbranch_execz .LBB23_17
; %bb.19:                               ;   in Loop: Header=BB23_18 Depth=4
	s_mov_b64 s[40:41], 0
	v_mov_b32_e32 v8, v16
	v_mov_b32_e32 v18, v2
	s_branch .LBB23_21
.LBB23_20:                              ;   in Loop: Header=BB23_21 Depth=5
	s_or_b64 exec, exec, s[42:43]
	v_add_u32_e32 v18, 1, v18
	v_cmp_ge_i32_e32 vcc, v18, v13
	s_or_b64 s[40:41], vcc, s[40:41]
	v_add_u32_e32 v8, 1, v8
	s_andn2_b64 exec, exec, s[40:41]
	s_cbranch_execz .LBB23_16
.LBB23_21:                              ;   Parent Loop BB23_3 Depth=1
                                        ;     Parent Loop BB23_10 Depth=2
                                        ;       Parent Loop BB23_14 Depth=3
                                        ;         Parent Loop BB23_18 Depth=4
                                        ; =>        This Inner Loop Header: Depth=5
	v_ashrrev_i32_e32 v9, 31, v8
	v_lshlrev_b64 v[20:21], 3, v[8:9]
	v_mov_b32_e32 v19, s27
	v_add_co_u32_e32 v20, vcc, s26, v20
	v_addc_co_u32_e32 v21, vcc, v19, v21, vcc
	global_load_dwordx2 v[20:21], v[20:21], off
	s_waitcnt vmcnt(0)
	v_cmp_eq_u64_e32 vcc, v[20:21], v[4:5]
	s_and_saveexec_b64 s[42:43], vcc
	s_cbranch_execz .LBB23_20
; %bb.22:                               ;   in Loop: Header=BB23_21 Depth=5
	v_lshlrev_b64 v[20:21], 1, v[8:9]
	v_mov_b32_e32 v9, s25
	v_add_co_u32_e32 v20, vcc, s24, v20
	v_addc_co_u32_e32 v21, vcc, v9, v21, vcc
	global_load_ushort v9, v[20:21], off
	s_waitcnt vmcnt(0)
	v_cvt_f32_f16_e32 v9, v9
	v_add_f32_e32 v15, v15, v9
	s_branch .LBB23_20
.LBB23_23:
	s_endpgm
	.section	.rodata,"a",@progbits
	.p2align	6, 0x0
	.amdhsa_kernel _ZN2at6native12_GLOBAL__N_122max_pool_backward_nchwIN3c104HalfEfiEEvPKT_PKlT1_SA_SA_SA_SA_SA_iiiiiiiiPS5_
		.amdhsa_group_segment_fixed_size 0
		.amdhsa_private_segment_fixed_size 0
		.amdhsa_kernarg_size 336
		.amdhsa_user_sgpr_count 6
		.amdhsa_user_sgpr_private_segment_buffer 1
		.amdhsa_user_sgpr_dispatch_ptr 0
		.amdhsa_user_sgpr_queue_ptr 0
		.amdhsa_user_sgpr_kernarg_segment_ptr 1
		.amdhsa_user_sgpr_dispatch_id 0
		.amdhsa_user_sgpr_flat_scratch_init 0
		.amdhsa_user_sgpr_kernarg_preload_length 0
		.amdhsa_user_sgpr_kernarg_preload_offset 0
		.amdhsa_user_sgpr_private_segment_size 0
		.amdhsa_uses_dynamic_stack 0
		.amdhsa_system_sgpr_private_segment_wavefront_offset 0
		.amdhsa_system_sgpr_workgroup_id_x 1
		.amdhsa_system_sgpr_workgroup_id_y 1
		.amdhsa_system_sgpr_workgroup_id_z 1
		.amdhsa_system_sgpr_workgroup_info 0
		.amdhsa_system_vgpr_workitem_id 0
		.amdhsa_next_free_vgpr 22
		.amdhsa_next_free_sgpr 62
		.amdhsa_accum_offset 24
		.amdhsa_reserve_vcc 1
		.amdhsa_reserve_flat_scratch 0
		.amdhsa_float_round_mode_32 0
		.amdhsa_float_round_mode_16_64 0
		.amdhsa_float_denorm_mode_32 3
		.amdhsa_float_denorm_mode_16_64 3
		.amdhsa_dx10_clamp 1
		.amdhsa_ieee_mode 1
		.amdhsa_fp16_overflow 0
		.amdhsa_tg_split 0
		.amdhsa_exception_fp_ieee_invalid_op 0
		.amdhsa_exception_fp_denorm_src 0
		.amdhsa_exception_fp_ieee_div_zero 0
		.amdhsa_exception_fp_ieee_overflow 0
		.amdhsa_exception_fp_ieee_underflow 0
		.amdhsa_exception_fp_ieee_inexact 0
		.amdhsa_exception_int_div_zero 0
	.end_amdhsa_kernel
	.section	.text._ZN2at6native12_GLOBAL__N_122max_pool_backward_nchwIN3c104HalfEfiEEvPKT_PKlT1_SA_SA_SA_SA_SA_iiiiiiiiPS5_,"axG",@progbits,_ZN2at6native12_GLOBAL__N_122max_pool_backward_nchwIN3c104HalfEfiEEvPKT_PKlT1_SA_SA_SA_SA_SA_iiiiiiiiPS5_,comdat
.Lfunc_end23:
	.size	_ZN2at6native12_GLOBAL__N_122max_pool_backward_nchwIN3c104HalfEfiEEvPKT_PKlT1_SA_SA_SA_SA_SA_iiiiiiiiPS5_, .Lfunc_end23-_ZN2at6native12_GLOBAL__N_122max_pool_backward_nchwIN3c104HalfEfiEEvPKT_PKlT1_SA_SA_SA_SA_SA_iiiiiiiiPS5_
                                        ; -- End function
	.section	.AMDGPU.csdata,"",@progbits
; Kernel info:
; codeLenInByte = 1268
; NumSgprs: 66
; NumVgprs: 22
; NumAgprs: 0
; TotalNumVgprs: 22
; ScratchSize: 0
; MemoryBound: 0
; FloatMode: 240
; IeeeMode: 1
; LDSByteSize: 0 bytes/workgroup (compile time only)
; SGPRBlocks: 8
; VGPRBlocks: 2
; NumSGPRsForWavesPerEU: 66
; NumVGPRsForWavesPerEU: 22
; AccumOffset: 24
; Occupancy: 8
; WaveLimiterHint : 0
; COMPUTE_PGM_RSRC2:SCRATCH_EN: 0
; COMPUTE_PGM_RSRC2:USER_SGPR: 6
; COMPUTE_PGM_RSRC2:TRAP_HANDLER: 0
; COMPUTE_PGM_RSRC2:TGID_X_EN: 1
; COMPUTE_PGM_RSRC2:TGID_Y_EN: 1
; COMPUTE_PGM_RSRC2:TGID_Z_EN: 1
; COMPUTE_PGM_RSRC2:TIDIG_COMP_CNT: 0
; COMPUTE_PGM_RSRC3_GFX90A:ACCUM_OFFSET: 5
; COMPUTE_PGM_RSRC3_GFX90A:TG_SPLIT: 0
	.section	.text._ZN2at6native12_GLOBAL__N_122max_pool_backward_nchwIN3c104HalfEflEEvPKT_PKlT1_SA_SA_SA_SA_SA_iiiiiiiiPS5_,"axG",@progbits,_ZN2at6native12_GLOBAL__N_122max_pool_backward_nchwIN3c104HalfEflEEvPKT_PKlT1_SA_SA_SA_SA_SA_iiiiiiiiPS5_,comdat
	.globl	_ZN2at6native12_GLOBAL__N_122max_pool_backward_nchwIN3c104HalfEflEEvPKT_PKlT1_SA_SA_SA_SA_SA_iiiiiiiiPS5_ ; -- Begin function _ZN2at6native12_GLOBAL__N_122max_pool_backward_nchwIN3c104HalfEflEEvPKT_PKlT1_SA_SA_SA_SA_SA_iiiiiiiiPS5_
	.p2align	8
	.type	_ZN2at6native12_GLOBAL__N_122max_pool_backward_nchwIN3c104HalfEflEEvPKT_PKlT1_SA_SA_SA_SA_SA_iiiiiiiiPS5_,@function
_ZN2at6native12_GLOBAL__N_122max_pool_backward_nchwIN3c104HalfEflEEvPKT_PKlT1_SA_SA_SA_SA_SA_iiiiiiiiPS5_: ; @_ZN2at6native12_GLOBAL__N_122max_pool_backward_nchwIN3c104HalfEflEEvPKT_PKlT1_SA_SA_SA_SA_SA_iiiiiiiiPS5_
; %bb.0:
	s_load_dword s0, s[4:5], 0x74
	s_load_dwordx16 s[12:27], s[4:5], 0x0
	s_add_u32 s28, s4, 0x68
	v_mov_b32_e32 v2, 0
	s_mov_b32 s10, s7
	s_addc_u32 s29, s5, 0
	s_waitcnt lgkmcnt(0)
	s_and_b32 s7, s0, 0xffff
	v_mov_b32_e32 v1, v2
	v_mov_b32_e32 v3, s6
	v_mad_u64_u32 v[0:1], s[0:1], s7, v3, v[0:1]
	s_mul_i32 s0, s22, s21
	s_mul_hi_u32 s1, s22, s20
	s_add_i32 s0, s1, s0
	s_mul_i32 s1, s23, s20
	s_add_i32 s21, s0, s1
	s_mul_i32 s20, s22, s20
	v_cmp_gt_i64_e32 vcc, s[20:21], v[0:1]
	s_and_saveexec_b64 s[0:1], vcc
	s_cbranch_execz .LBB24_43
; %bb.1:
	s_load_dwordx8 s[36:43], s[4:5], 0x40
	s_load_dwordx2 s[30:31], s[4:5], 0x60
	s_load_dword s6, s[28:29], 0x0
	s_mul_i32 s4, s19, s10
	s_mul_hi_u32 s5, s18, s10
	s_waitcnt lgkmcnt(0)
	s_add_i32 s0, s36, -1
	s_mul_i32 s0, s0, s42
	s_add_i32 s34, s0, 1
	s_add_i32 s0, s37, -1
	s_mul_i32 s0, s0, s43
	s_add_i32 s36, s0, 1
	v_cvt_f32_u32_e32 v3, s22
	s_ashr_i32 s52, s40, 31
	s_ashr_i32 s35, s34, 31
	;; [unrolled: 1-line block ×6, first 2 shown]
	s_add_i32 s5, s5, s4
	s_mul_i32 s4, s18, s10
	s_add_u32 s4, s4, s8
	s_addc_u32 s5, s5, 0
	s_mul_i32 s72, s6, s7
	s_mul_i32 s5, s24, s5
	s_mul_hi_u32 s6, s24, s4
	v_rcp_iflag_f32_e32 v3, v3
	s_add_i32 s5, s6, s5
	s_mul_i32 s6, s25, s4
	s_add_i32 s74, s5, s6
	s_mul_i32 s75, s24, s4
	s_mul_i32 s4, s26, s25
	s_mul_hi_u32 s5, s26, s24
	s_add_i32 s4, s5, s4
	s_mul_i32 s5, s27, s24
	s_add_i32 s5, s4, s5
	s_mul_i32 s4, s26, s24
	v_mul_f32_e32 v3, 0x4f7ffffe, v3
	s_mul_i32 s6, s4, s19
	s_mul_hi_u32 s7, s4, s18
	v_cvt_u32_f32_e32 v32, v3
	s_mov_b32 s11, 0
	v_pk_mov_b32 v[4:5], s[16:17], s[16:17] op_sel:[0,1]
	s_add_i32 s6, s7, s6
	s_mul_i32 s7, s5, s18
	v_cmp_lt_i64_e64 s[0:1], s[10:11], v[4:5]
	s_mov_b32 s9, s11
	v_pk_mov_b32 v[4:5], s[18:19], s[18:19] op_sel:[0,1]
	s_add_i32 s7, s6, s7
	s_mul_i32 s6, s4, s18
	s_mov_b32 s33, s40
	s_mov_b32 s67, s38
	s_mov_b32 s69, s41
	s_mov_b32 s71, s39
	v_cmp_lt_i64_e64 s[2:3], s[8:9], v[4:5]
	s_mov_b32 s73, s11
	s_lshl_b64 s[38:39], s[6:7], 3
	s_lshl_b64 s[40:41], s[4:5], 3
	s_lshl_b64 s[42:43], s[26:27], 3
	s_lshl_b64 s[44:45], s[6:7], 1
	s_lshl_b64 s[46:47], s[4:5], 1
	s_lshl_b64 s[48:49], s[26:27], 1
	s_mov_b64 s[50:51], 0
	v_mov_b32_e32 v33, s52
	s_branch .LBB24_3
.LBB24_2:                               ;   in Loop: Header=BB24_3 Depth=1
	v_mov_b32_e32 v3, s73
	v_add_co_u32_e32 v0, vcc, s72, v0
	v_addc_co_u32_e32 v1, vcc, v1, v3, vcc
	v_cmp_le_i64_e32 vcc, s[20:21], v[0:1]
	s_or_b64 s[50:51], vcc, s[50:51]
	s_andn2_b64 exec, exec, s[50:51]
	s_cbranch_execz .LBB24_43
.LBB24_3:                               ; =>This Loop Header: Depth=1
                                        ;     Child Loop BB24_30 Depth 2
                                        ;       Child Loop BB24_34 Depth 3
                                        ;         Child Loop BB24_38 Depth 4
                                        ;           Child Loop BB24_41 Depth 5
	v_or_b32_e32 v3, s23, v1
	v_cmp_ne_u64_e32 vcc, 0, v[2:3]
                                        ; implicit-def: $vgpr6_vgpr7
	s_and_saveexec_b64 s[4:5], vcc
	s_xor_b64 s[6:7], exec, s[4:5]
	s_cbranch_execz .LBB24_5
; %bb.4:                                ;   in Loop: Header=BB24_3 Depth=1
	s_ashr_i32 s52, s23, 31
	s_add_u32 s4, s22, s52
	s_mov_b32 s53, s52
	s_addc_u32 s5, s23, s52
	s_xor_b64 s[54:55], s[4:5], s[52:53]
	v_cvt_f32_u32_e32 v3, s54
	v_cvt_f32_u32_e32 v4, s55
	s_sub_u32 s4, 0, s54
	s_subb_u32 s5, 0, s55
	v_mac_f32_e32 v3, 0x4f800000, v4
	v_rcp_f32_e32 v3, v3
	v_mul_f32_e32 v3, 0x5f7ffffc, v3
	v_mul_f32_e32 v4, 0x2f800000, v3
	v_trunc_f32_e32 v4, v4
	v_mac_f32_e32 v3, 0xcf800000, v4
	v_cvt_u32_f32_e32 v4, v4
	v_cvt_u32_f32_e32 v3, v3
	v_mul_lo_u32 v5, s4, v4
	v_mul_hi_u32 v7, s4, v3
	v_mul_lo_u32 v6, s5, v3
	v_add_u32_e32 v5, v7, v5
	v_mul_lo_u32 v8, s4, v3
	v_add_u32_e32 v5, v5, v6
	v_mul_lo_u32 v7, v3, v5
	v_mul_hi_u32 v9, v3, v8
	v_mul_hi_u32 v6, v3, v5
	v_add_co_u32_e32 v7, vcc, v9, v7
	v_addc_co_u32_e32 v6, vcc, 0, v6, vcc
	v_mul_hi_u32 v10, v4, v8
	v_mul_lo_u32 v8, v4, v8
	v_add_co_u32_e32 v7, vcc, v7, v8
	v_mul_hi_u32 v9, v4, v5
	v_addc_co_u32_e32 v6, vcc, v6, v10, vcc
	v_addc_co_u32_e32 v7, vcc, 0, v9, vcc
	v_mul_lo_u32 v5, v4, v5
	v_add_co_u32_e32 v5, vcc, v6, v5
	v_addc_co_u32_e32 v6, vcc, 0, v7, vcc
	v_add_co_u32_e32 v3, vcc, v3, v5
	v_addc_co_u32_e32 v4, vcc, v4, v6, vcc
	v_mul_lo_u32 v5, s4, v4
	v_mul_hi_u32 v6, s4, v3
	v_add_u32_e32 v5, v6, v5
	v_mul_lo_u32 v6, s5, v3
	v_add_u32_e32 v5, v5, v6
	v_mul_lo_u32 v7, s4, v3
	v_mul_hi_u32 v8, v4, v7
	v_mul_lo_u32 v9, v4, v7
	v_mul_lo_u32 v11, v3, v5
	v_mul_hi_u32 v7, v3, v7
	v_mul_hi_u32 v10, v3, v5
	v_add_co_u32_e32 v7, vcc, v7, v11
	v_addc_co_u32_e32 v10, vcc, 0, v10, vcc
	v_add_co_u32_e32 v7, vcc, v7, v9
	v_mul_hi_u32 v6, v4, v5
	v_addc_co_u32_e32 v7, vcc, v10, v8, vcc
	v_addc_co_u32_e32 v6, vcc, 0, v6, vcc
	v_mul_lo_u32 v5, v4, v5
	v_add_co_u32_e32 v5, vcc, v7, v5
	v_addc_co_u32_e32 v6, vcc, 0, v6, vcc
	v_add_co_u32_e32 v3, vcc, v3, v5
	v_addc_co_u32_e32 v6, vcc, v4, v6, vcc
	v_ashrrev_i32_e32 v8, 31, v1
	v_add_co_u32_e32 v4, vcc, v0, v8
	v_addc_co_u32_e32 v5, vcc, v1, v8, vcc
	v_xor_b32_e32 v10, v4, v8
	v_xor_b32_e32 v9, v5, v8
	v_mad_u64_u32 v[4:5], s[4:5], v10, v6, 0
	v_mul_hi_u32 v7, v10, v3
	v_add_co_u32_e32 v11, vcc, v7, v4
	v_addc_co_u32_e32 v12, vcc, 0, v5, vcc
	v_mad_u64_u32 v[4:5], s[4:5], v9, v6, 0
	v_mad_u64_u32 v[6:7], s[4:5], v9, v3, 0
	v_add_co_u32_e32 v3, vcc, v11, v6
	v_addc_co_u32_e32 v3, vcc, v12, v7, vcc
	v_addc_co_u32_e32 v5, vcc, 0, v5, vcc
	v_add_co_u32_e32 v3, vcc, v3, v4
	v_addc_co_u32_e32 v6, vcc, 0, v5, vcc
	v_mul_lo_u32 v7, s55, v3
	v_mul_lo_u32 v11, s54, v6
	v_mad_u64_u32 v[4:5], s[4:5], s54, v3, 0
	v_add3_u32 v5, v5, v11, v7
	v_sub_u32_e32 v7, v9, v5
	v_mov_b32_e32 v11, s55
	v_sub_co_u32_e32 v4, vcc, v10, v4
	v_subb_co_u32_e64 v7, s[4:5], v7, v11, vcc
	v_subrev_co_u32_e64 v10, s[4:5], s54, v4
	v_subbrev_co_u32_e64 v7, s[4:5], 0, v7, s[4:5]
	v_cmp_le_u32_e64 s[4:5], s55, v7
	v_cndmask_b32_e64 v11, 0, -1, s[4:5]
	v_cmp_le_u32_e64 s[4:5], s54, v10
	v_cndmask_b32_e64 v10, 0, -1, s[4:5]
	v_cmp_eq_u32_e64 s[4:5], s55, v7
	v_cndmask_b32_e64 v7, v11, v10, s[4:5]
	v_add_co_u32_e64 v10, s[4:5], 2, v3
	v_subb_co_u32_e32 v5, vcc, v9, v5, vcc
	v_addc_co_u32_e64 v11, s[4:5], 0, v6, s[4:5]
	v_cmp_le_u32_e32 vcc, s55, v5
	v_add_co_u32_e64 v12, s[4:5], 1, v3
	v_cndmask_b32_e64 v9, 0, -1, vcc
	v_cmp_le_u32_e32 vcc, s54, v4
	v_addc_co_u32_e64 v13, s[4:5], 0, v6, s[4:5]
	v_cndmask_b32_e64 v4, 0, -1, vcc
	v_cmp_eq_u32_e32 vcc, s55, v5
	v_cmp_ne_u32_e64 s[4:5], 0, v7
	v_cndmask_b32_e32 v4, v9, v4, vcc
	v_cmp_ne_u32_e32 vcc, 0, v4
	v_cndmask_b32_e64 v5, v12, v10, s[4:5]
	v_cndmask_b32_e64 v7, v13, v11, s[4:5]
	v_cndmask_b32_e32 v3, v3, v5, vcc
	v_xor_b32_e32 v5, s52, v8
	v_cndmask_b32_e32 v4, v6, v7, vcc
	v_xor_b32_e32 v3, v3, v5
	v_xor_b32_e32 v4, v4, v5
	v_sub_co_u32_e32 v6, vcc, v3, v5
	v_subb_co_u32_e32 v7, vcc, v4, v5, vcc
.LBB24_5:                               ;   in Loop: Header=BB24_3 Depth=1
	s_andn2_saveexec_b64 s[4:5], s[6:7]
	s_cbranch_execz .LBB24_7
; %bb.6:                                ;   in Loop: Header=BB24_3 Depth=1
	s_sub_i32 s6, 0, s22
	v_mul_lo_u32 v3, s6, v32
	v_mul_hi_u32 v3, v32, v3
	v_add_u32_e32 v3, v32, v3
	v_mul_hi_u32 v3, v0, v3
	v_mul_lo_u32 v4, v3, s22
	v_sub_u32_e32 v4, v0, v4
	v_subrev_u32_e32 v5, s22, v4
	v_cmp_le_u32_e32 vcc, s22, v4
	v_cndmask_b32_e32 v4, v4, v5, vcc
	v_add_u32_e32 v5, 1, v3
	v_cndmask_b32_e32 v3, v3, v5, vcc
	v_add_u32_e32 v5, 1, v3
	v_cmp_le_u32_e32 vcc, s22, v4
	v_cndmask_b32_e32 v6, v3, v5, vcc
	v_mov_b32_e32 v7, v2
.LBB24_7:                               ;   in Loop: Header=BB24_3 Depth=1
	s_or_b64 exec, exec, s[4:5]
	v_add_co_u32_e32 v10, vcc, s33, v6
	v_addc_co_u32_e32 v11, vcc, v7, v33, vcc
	v_cmp_le_i64_e32 vcc, s[34:35], v[10:11]
	v_pk_mov_b32 v[4:5], 0, 0
	s_and_saveexec_b64 s[6:7], vcc
	s_cbranch_execz .LBB24_13
; %bb.8:                                ;   in Loop: Header=BB24_3 Depth=1
	v_mov_b32_e32 v3, s35
	v_subrev_co_u32_e32 v8, vcc, s34, v10
	v_subb_co_u32_e32 v9, vcc, v11, v3, vcc
	v_or_b32_e32 v3, s66, v9
	v_cmp_ne_u64_e32 vcc, 0, v[2:3]
                                        ; implicit-def: $vgpr4_vgpr5
	s_and_saveexec_b64 s[4:5], vcc
	s_xor_b64 s[52:53], exec, s[4:5]
	s_cbranch_execz .LBB24_10
; %bb.9:                                ;   in Loop: Header=BB24_3 Depth=1
	s_add_u32 s4, s67, s66
	s_mov_b32 s54, s66
	s_mov_b32 s55, s66
	s_addc_u32 s5, s66, s66
	s_xor_b64 s[56:57], s[4:5], s[54:55]
	v_cvt_f32_u32_e32 v3, s56
	v_cvt_f32_u32_e32 v4, s57
	s_sub_u32 s4, 0, s56
	s_subb_u32 s5, 0, s57
	v_mac_f32_e32 v3, 0x4f800000, v4
	v_rcp_f32_e32 v3, v3
	v_mul_f32_e32 v3, 0x5f7ffffc, v3
	v_mul_f32_e32 v4, 0x2f800000, v3
	v_trunc_f32_e32 v4, v4
	v_mac_f32_e32 v3, 0xcf800000, v4
	v_cvt_u32_f32_e32 v4, v4
	v_cvt_u32_f32_e32 v3, v3
	v_mul_lo_u32 v5, s4, v4
	v_mul_hi_u32 v13, s4, v3
	v_mul_lo_u32 v12, s5, v3
	v_add_u32_e32 v5, v13, v5
	v_mul_lo_u32 v14, s4, v3
	v_add_u32_e32 v5, v5, v12
	v_mul_lo_u32 v13, v3, v5
	v_mul_hi_u32 v15, v3, v14
	v_mul_hi_u32 v12, v3, v5
	v_add_co_u32_e32 v13, vcc, v15, v13
	v_addc_co_u32_e32 v12, vcc, 0, v12, vcc
	v_mul_hi_u32 v16, v4, v14
	v_mul_lo_u32 v14, v4, v14
	v_add_co_u32_e32 v13, vcc, v13, v14
	v_mul_hi_u32 v15, v4, v5
	v_addc_co_u32_e32 v12, vcc, v12, v16, vcc
	v_addc_co_u32_e32 v13, vcc, 0, v15, vcc
	v_mul_lo_u32 v5, v4, v5
	v_add_co_u32_e32 v5, vcc, v12, v5
	v_addc_co_u32_e32 v12, vcc, 0, v13, vcc
	v_add_co_u32_e32 v3, vcc, v3, v5
	v_addc_co_u32_e32 v4, vcc, v4, v12, vcc
	v_mul_lo_u32 v5, s4, v4
	v_mul_hi_u32 v12, s4, v3
	v_add_u32_e32 v5, v12, v5
	v_mul_lo_u32 v12, s5, v3
	v_add_u32_e32 v5, v5, v12
	v_mul_lo_u32 v13, s4, v3
	v_mul_hi_u32 v14, v4, v13
	v_mul_lo_u32 v15, v4, v13
	v_mul_lo_u32 v17, v3, v5
	v_mul_hi_u32 v13, v3, v13
	v_mul_hi_u32 v16, v3, v5
	v_add_co_u32_e32 v13, vcc, v13, v17
	v_addc_co_u32_e32 v16, vcc, 0, v16, vcc
	v_add_co_u32_e32 v13, vcc, v13, v15
	v_mul_hi_u32 v12, v4, v5
	v_addc_co_u32_e32 v13, vcc, v16, v14, vcc
	v_addc_co_u32_e32 v12, vcc, 0, v12, vcc
	v_mul_lo_u32 v5, v4, v5
	v_add_co_u32_e32 v5, vcc, v13, v5
	v_addc_co_u32_e32 v12, vcc, 0, v12, vcc
	v_add_co_u32_e32 v3, vcc, v3, v5
	v_addc_co_u32_e32 v12, vcc, v4, v12, vcc
	v_ashrrev_i32_e32 v13, 31, v9
	v_add_co_u32_e32 v4, vcc, v8, v13
	v_addc_co_u32_e32 v5, vcc, v9, v13, vcc
	v_xor_b32_e32 v15, v4, v13
	v_xor_b32_e32 v14, v5, v13
	v_mad_u64_u32 v[4:5], s[4:5], v15, v12, 0
	v_mul_hi_u32 v8, v15, v3
	v_add_co_u32_e32 v16, vcc, v8, v4
	v_addc_co_u32_e32 v17, vcc, 0, v5, vcc
	v_mad_u64_u32 v[8:9], s[4:5], v14, v3, 0
	v_add_co_u32_e32 v3, vcc, v16, v8
	v_mad_u64_u32 v[4:5], s[4:5], v14, v12, 0
	v_addc_co_u32_e32 v3, vcc, v17, v9, vcc
	v_addc_co_u32_e32 v5, vcc, 0, v5, vcc
	v_add_co_u32_e32 v3, vcc, v3, v4
	v_addc_co_u32_e32 v8, vcc, 0, v5, vcc
	v_mul_lo_u32 v9, s57, v3
	v_mul_lo_u32 v12, s56, v8
	v_mad_u64_u32 v[4:5], s[4:5], s56, v3, 0
	v_add3_u32 v5, v5, v12, v9
	v_sub_u32_e32 v9, v14, v5
	v_mov_b32_e32 v12, s57
	v_sub_co_u32_e32 v4, vcc, v15, v4
	v_subb_co_u32_e64 v9, s[4:5], v9, v12, vcc
	v_subrev_co_u32_e64 v12, s[4:5], s56, v4
	v_subbrev_co_u32_e64 v9, s[4:5], 0, v9, s[4:5]
	v_cmp_le_u32_e64 s[4:5], s57, v9
	v_cndmask_b32_e64 v15, 0, -1, s[4:5]
	v_cmp_le_u32_e64 s[4:5], s56, v12
	v_cndmask_b32_e64 v12, 0, -1, s[4:5]
	v_cmp_eq_u32_e64 s[4:5], s57, v9
	v_cndmask_b32_e64 v9, v15, v12, s[4:5]
	v_add_co_u32_e64 v12, s[4:5], 2, v3
	v_subb_co_u32_e32 v5, vcc, v14, v5, vcc
	v_addc_co_u32_e64 v15, s[4:5], 0, v8, s[4:5]
	v_cmp_le_u32_e32 vcc, s57, v5
	v_add_co_u32_e64 v16, s[4:5], 1, v3
	v_cndmask_b32_e64 v14, 0, -1, vcc
	v_cmp_le_u32_e32 vcc, s56, v4
	v_addc_co_u32_e64 v17, s[4:5], 0, v8, s[4:5]
	v_cndmask_b32_e64 v4, 0, -1, vcc
	v_cmp_eq_u32_e32 vcc, s57, v5
	v_cmp_ne_u32_e64 s[4:5], 0, v9
	v_cndmask_b32_e32 v4, v14, v4, vcc
	v_cndmask_b32_e64 v9, v17, v15, s[4:5]
	v_cmp_ne_u32_e32 vcc, 0, v4
	v_cndmask_b32_e64 v5, v16, v12, s[4:5]
	v_cndmask_b32_e32 v4, v8, v9, vcc
	v_cndmask_b32_e32 v3, v3, v5, vcc
	v_xor_b32_e32 v8, s54, v13
	v_xor_b32_e32 v5, s55, v13
	;; [unrolled: 1-line block ×4, first 2 shown]
	v_sub_co_u32_e32 v4, vcc, v3, v8
	v_subb_co_u32_e32 v5, vcc, v9, v5, vcc
                                        ; implicit-def: $vgpr8
.LBB24_10:                              ;   in Loop: Header=BB24_3 Depth=1
	s_andn2_saveexec_b64 s[4:5], s[52:53]
	s_cbranch_execz .LBB24_12
; %bb.11:                               ;   in Loop: Header=BB24_3 Depth=1
	v_cvt_f32_u32_e32 v3, s67
	s_sub_i32 s52, 0, s67
	v_rcp_iflag_f32_e32 v3, v3
	v_mul_f32_e32 v3, 0x4f7ffffe, v3
	v_cvt_u32_f32_e32 v3, v3
	v_mul_lo_u32 v4, s52, v3
	v_mul_hi_u32 v4, v3, v4
	v_add_u32_e32 v3, v3, v4
	v_mul_hi_u32 v3, v8, v3
	v_mul_lo_u32 v4, v3, s67
	v_sub_u32_e32 v4, v8, v4
	v_add_u32_e32 v5, 1, v3
	v_subrev_u32_e32 v8, s67, v4
	v_cmp_le_u32_e32 vcc, s67, v4
	v_cndmask_b32_e32 v4, v4, v8, vcc
	v_cndmask_b32_e32 v3, v3, v5, vcc
	v_add_u32_e32 v5, 1, v3
	v_cmp_le_u32_e32 vcc, s67, v4
	v_cndmask_b32_e32 v4, v3, v5, vcc
	v_mov_b32_e32 v5, v2
.LBB24_12:                              ;   in Loop: Header=BB24_3 Depth=1
	s_or_b64 exec, exec, s[4:5]
	v_add_co_u32_e32 v4, vcc, 1, v4
	v_addc_co_u32_e32 v5, vcc, 0, v5, vcc
.LBB24_13:                              ;   in Loop: Header=BB24_3 Depth=1
	s_or_b64 exec, exec, s[6:7]
	v_or_b32_e32 v3, s66, v11
	v_cmp_ne_u64_e32 vcc, 0, v[2:3]
                                        ; implicit-def: $vgpr8_vgpr9
	s_and_saveexec_b64 s[4:5], vcc
	s_xor_b64 s[6:7], exec, s[4:5]
	s_cbranch_execz .LBB24_15
; %bb.14:                               ;   in Loop: Header=BB24_3 Depth=1
	s_add_u32 s4, s67, s66
	s_mov_b32 s52, s66
	s_mov_b32 s53, s66
	s_addc_u32 s5, s66, s66
	s_xor_b64 s[54:55], s[4:5], s[52:53]
	v_cvt_f32_u32_e32 v3, s54
	v_cvt_f32_u32_e32 v8, s55
	s_sub_u32 s4, 0, s54
	s_subb_u32 s5, 0, s55
	v_mac_f32_e32 v3, 0x4f800000, v8
	v_rcp_f32_e32 v3, v3
	v_mul_f32_e32 v3, 0x5f7ffffc, v3
	v_mul_f32_e32 v8, 0x2f800000, v3
	v_trunc_f32_e32 v8, v8
	v_mac_f32_e32 v3, 0xcf800000, v8
	v_cvt_u32_f32_e32 v8, v8
	v_cvt_u32_f32_e32 v3, v3
	v_mul_lo_u32 v9, s4, v8
	v_mul_hi_u32 v13, s4, v3
	v_mul_lo_u32 v12, s5, v3
	v_add_u32_e32 v9, v13, v9
	v_mul_lo_u32 v14, s4, v3
	v_add_u32_e32 v9, v9, v12
	v_mul_lo_u32 v13, v3, v9
	v_mul_hi_u32 v15, v3, v14
	v_mul_hi_u32 v12, v3, v9
	v_add_co_u32_e32 v13, vcc, v15, v13
	v_addc_co_u32_e32 v12, vcc, 0, v12, vcc
	v_mul_hi_u32 v16, v8, v14
	v_mul_lo_u32 v14, v8, v14
	v_add_co_u32_e32 v13, vcc, v13, v14
	v_mul_hi_u32 v15, v8, v9
	v_addc_co_u32_e32 v12, vcc, v12, v16, vcc
	v_addc_co_u32_e32 v13, vcc, 0, v15, vcc
	v_mul_lo_u32 v9, v8, v9
	v_add_co_u32_e32 v9, vcc, v12, v9
	v_addc_co_u32_e32 v12, vcc, 0, v13, vcc
	v_add_co_u32_e32 v3, vcc, v3, v9
	v_addc_co_u32_e32 v8, vcc, v8, v12, vcc
	v_mul_lo_u32 v9, s4, v8
	v_mul_hi_u32 v12, s4, v3
	v_add_u32_e32 v9, v12, v9
	v_mul_lo_u32 v12, s5, v3
	v_add_u32_e32 v9, v9, v12
	v_mul_lo_u32 v13, s4, v3
	v_mul_hi_u32 v14, v8, v13
	v_mul_lo_u32 v15, v8, v13
	v_mul_lo_u32 v17, v3, v9
	v_mul_hi_u32 v13, v3, v13
	v_mul_hi_u32 v16, v3, v9
	v_add_co_u32_e32 v13, vcc, v13, v17
	v_addc_co_u32_e32 v16, vcc, 0, v16, vcc
	v_add_co_u32_e32 v13, vcc, v13, v15
	v_mul_hi_u32 v12, v8, v9
	v_addc_co_u32_e32 v13, vcc, v16, v14, vcc
	v_addc_co_u32_e32 v12, vcc, 0, v12, vcc
	v_mul_lo_u32 v9, v8, v9
	v_add_co_u32_e32 v9, vcc, v13, v9
	v_addc_co_u32_e32 v12, vcc, 0, v12, vcc
	v_add_co_u32_e32 v3, vcc, v3, v9
	v_addc_co_u32_e32 v12, vcc, v8, v12, vcc
	v_ashrrev_i32_e32 v13, 31, v11
	v_add_co_u32_e32 v8, vcc, v10, v13
	v_addc_co_u32_e32 v9, vcc, v11, v13, vcc
	v_xor_b32_e32 v15, v8, v13
	v_xor_b32_e32 v14, v9, v13
	v_mad_u64_u32 v[8:9], s[4:5], v15, v12, 0
	v_mul_hi_u32 v10, v15, v3
	v_add_co_u32_e32 v16, vcc, v10, v8
	v_addc_co_u32_e32 v17, vcc, 0, v9, vcc
	v_mad_u64_u32 v[10:11], s[4:5], v14, v3, 0
	v_add_co_u32_e32 v3, vcc, v16, v10
	v_mad_u64_u32 v[8:9], s[4:5], v14, v12, 0
	v_addc_co_u32_e32 v3, vcc, v17, v11, vcc
	v_addc_co_u32_e32 v9, vcc, 0, v9, vcc
	v_add_co_u32_e32 v3, vcc, v3, v8
	v_addc_co_u32_e32 v10, vcc, 0, v9, vcc
	v_mul_lo_u32 v11, s55, v3
	v_mul_lo_u32 v12, s54, v10
	v_mad_u64_u32 v[8:9], s[4:5], s54, v3, 0
	v_add3_u32 v9, v9, v12, v11
	v_sub_u32_e32 v11, v14, v9
	v_mov_b32_e32 v12, s55
	v_sub_co_u32_e32 v8, vcc, v15, v8
	v_subb_co_u32_e64 v11, s[4:5], v11, v12, vcc
	v_subrev_co_u32_e64 v12, s[4:5], s54, v8
	v_subbrev_co_u32_e64 v11, s[4:5], 0, v11, s[4:5]
	v_cmp_le_u32_e64 s[4:5], s55, v11
	v_cndmask_b32_e64 v15, 0, -1, s[4:5]
	v_cmp_le_u32_e64 s[4:5], s54, v12
	v_cndmask_b32_e64 v12, 0, -1, s[4:5]
	v_cmp_eq_u32_e64 s[4:5], s55, v11
	v_cndmask_b32_e64 v11, v15, v12, s[4:5]
	v_add_co_u32_e64 v12, s[4:5], 2, v3
	v_subb_co_u32_e32 v9, vcc, v14, v9, vcc
	v_addc_co_u32_e64 v15, s[4:5], 0, v10, s[4:5]
	v_cmp_le_u32_e32 vcc, s55, v9
	v_add_co_u32_e64 v16, s[4:5], 1, v3
	v_cndmask_b32_e64 v14, 0, -1, vcc
	v_cmp_le_u32_e32 vcc, s54, v8
	v_addc_co_u32_e64 v17, s[4:5], 0, v10, s[4:5]
	v_cndmask_b32_e64 v8, 0, -1, vcc
	v_cmp_eq_u32_e32 vcc, s55, v9
	v_cmp_ne_u32_e64 s[4:5], 0, v11
	v_cndmask_b32_e32 v8, v14, v8, vcc
	v_cndmask_b32_e64 v11, v17, v15, s[4:5]
	v_cmp_ne_u32_e32 vcc, 0, v8
	v_cndmask_b32_e64 v9, v16, v12, s[4:5]
	v_cndmask_b32_e32 v8, v10, v11, vcc
	v_cndmask_b32_e32 v3, v3, v9, vcc
	v_xor_b32_e32 v10, s52, v13
	v_xor_b32_e32 v9, s53, v13
	;; [unrolled: 1-line block ×4, first 2 shown]
	v_sub_co_u32_e32 v8, vcc, v3, v10
	v_subb_co_u32_e32 v9, vcc, v11, v9, vcc
                                        ; implicit-def: $vgpr10
.LBB24_15:                              ;   in Loop: Header=BB24_3 Depth=1
	s_andn2_saveexec_b64 s[4:5], s[6:7]
	s_cbranch_execz .LBB24_17
; %bb.16:                               ;   in Loop: Header=BB24_3 Depth=1
	v_cvt_f32_u32_e32 v3, s67
	s_sub_i32 s6, 0, s67
	v_rcp_iflag_f32_e32 v3, v3
	v_mul_f32_e32 v3, 0x4f7ffffe, v3
	v_cvt_u32_f32_e32 v3, v3
	v_mul_lo_u32 v8, s6, v3
	v_mul_hi_u32 v8, v3, v8
	v_add_u32_e32 v3, v3, v8
	v_mul_hi_u32 v3, v10, v3
	v_mul_lo_u32 v8, v3, s67
	v_sub_u32_e32 v8, v10, v8
	v_add_u32_e32 v9, 1, v3
	v_subrev_u32_e32 v10, s67, v8
	v_cmp_le_u32_e32 vcc, s67, v8
	v_cndmask_b32_e32 v8, v8, v10, vcc
	v_cndmask_b32_e32 v3, v3, v9, vcc
	v_add_u32_e32 v9, 1, v3
	v_cmp_le_u32_e32 vcc, s67, v8
	v_cndmask_b32_e32 v8, v3, v9, vcc
	v_mov_b32_e32 v9, v2
.LBB24_17:                              ;   in Loop: Header=BB24_3 Depth=1
	s_or_b64 exec, exec, s[4:5]
	v_mul_lo_u32 v3, v7, s22
	v_mul_lo_u32 v10, v6, s23
	v_mad_u64_u32 v[6:7], s[4:5], v6, s22, 0
	v_add3_u32 v3, v7, v10, v3
	v_sub_co_u32_e32 v6, vcc, v0, v6
	v_subb_co_u32_e32 v3, vcc, v1, v3, vcc
	v_mov_b32_e32 v7, s68
	v_add_co_u32_e32 v10, vcc, s69, v6
	v_addc_co_u32_e32 v11, vcc, v3, v7, vcc
	v_cmp_le_i64_e32 vcc, s[36:37], v[10:11]
	v_pk_mov_b32 v[6:7], 0, 0
	s_and_saveexec_b64 s[6:7], vcc
	s_cbranch_execz .LBB24_23
; %bb.18:                               ;   in Loop: Header=BB24_3 Depth=1
	v_mov_b32_e32 v3, s37
	v_subrev_co_u32_e32 v12, vcc, s36, v10
	v_subb_co_u32_e32 v13, vcc, v11, v3, vcc
	v_or_b32_e32 v3, s70, v13
	v_cmp_ne_u64_e32 vcc, 0, v[2:3]
                                        ; implicit-def: $vgpr6_vgpr7
	s_and_saveexec_b64 s[4:5], vcc
	s_xor_b64 s[52:53], exec, s[4:5]
	s_cbranch_execz .LBB24_20
; %bb.19:                               ;   in Loop: Header=BB24_3 Depth=1
	s_add_u32 s4, s71, s70
	s_mov_b32 s54, s70
	s_mov_b32 s55, s70
	s_addc_u32 s5, s70, s70
	s_xor_b64 s[56:57], s[4:5], s[54:55]
	v_cvt_f32_u32_e32 v3, s56
	v_cvt_f32_u32_e32 v6, s57
	s_sub_u32 s4, 0, s56
	s_subb_u32 s5, 0, s57
	v_mac_f32_e32 v3, 0x4f800000, v6
	v_rcp_f32_e32 v3, v3
	v_mul_f32_e32 v3, 0x5f7ffffc, v3
	v_mul_f32_e32 v6, 0x2f800000, v3
	v_trunc_f32_e32 v6, v6
	v_mac_f32_e32 v3, 0xcf800000, v6
	v_cvt_u32_f32_e32 v6, v6
	v_cvt_u32_f32_e32 v3, v3
	v_mul_lo_u32 v7, s4, v6
	v_mul_hi_u32 v15, s4, v3
	v_mul_lo_u32 v14, s5, v3
	v_add_u32_e32 v7, v15, v7
	v_mul_lo_u32 v16, s4, v3
	v_add_u32_e32 v7, v7, v14
	v_mul_lo_u32 v15, v3, v7
	v_mul_hi_u32 v17, v3, v16
	v_mul_hi_u32 v14, v3, v7
	v_add_co_u32_e32 v15, vcc, v17, v15
	v_addc_co_u32_e32 v14, vcc, 0, v14, vcc
	v_mul_hi_u32 v18, v6, v16
	v_mul_lo_u32 v16, v6, v16
	v_add_co_u32_e32 v15, vcc, v15, v16
	v_mul_hi_u32 v17, v6, v7
	v_addc_co_u32_e32 v14, vcc, v14, v18, vcc
	v_addc_co_u32_e32 v15, vcc, 0, v17, vcc
	v_mul_lo_u32 v7, v6, v7
	v_add_co_u32_e32 v7, vcc, v14, v7
	v_addc_co_u32_e32 v14, vcc, 0, v15, vcc
	v_add_co_u32_e32 v3, vcc, v3, v7
	v_addc_co_u32_e32 v6, vcc, v6, v14, vcc
	v_mul_lo_u32 v7, s4, v6
	v_mul_hi_u32 v14, s4, v3
	v_add_u32_e32 v7, v14, v7
	v_mul_lo_u32 v14, s5, v3
	v_add_u32_e32 v7, v7, v14
	v_mul_lo_u32 v15, s4, v3
	v_mul_hi_u32 v16, v6, v15
	v_mul_lo_u32 v17, v6, v15
	v_mul_lo_u32 v19, v3, v7
	v_mul_hi_u32 v15, v3, v15
	v_mul_hi_u32 v18, v3, v7
	v_add_co_u32_e32 v15, vcc, v15, v19
	v_addc_co_u32_e32 v18, vcc, 0, v18, vcc
	v_add_co_u32_e32 v15, vcc, v15, v17
	v_mul_hi_u32 v14, v6, v7
	v_addc_co_u32_e32 v15, vcc, v18, v16, vcc
	v_addc_co_u32_e32 v14, vcc, 0, v14, vcc
	v_mul_lo_u32 v7, v6, v7
	v_add_co_u32_e32 v7, vcc, v15, v7
	v_addc_co_u32_e32 v14, vcc, 0, v14, vcc
	v_add_co_u32_e32 v3, vcc, v3, v7
	v_addc_co_u32_e32 v14, vcc, v6, v14, vcc
	v_ashrrev_i32_e32 v15, 31, v13
	v_add_co_u32_e32 v6, vcc, v12, v15
	v_addc_co_u32_e32 v7, vcc, v13, v15, vcc
	v_xor_b32_e32 v17, v6, v15
	v_xor_b32_e32 v16, v7, v15
	v_mad_u64_u32 v[6:7], s[4:5], v17, v14, 0
	v_mul_hi_u32 v12, v17, v3
	v_add_co_u32_e32 v18, vcc, v12, v6
	v_addc_co_u32_e32 v19, vcc, 0, v7, vcc
	v_mad_u64_u32 v[12:13], s[4:5], v16, v3, 0
	v_add_co_u32_e32 v3, vcc, v18, v12
	v_mad_u64_u32 v[6:7], s[4:5], v16, v14, 0
	v_addc_co_u32_e32 v3, vcc, v19, v13, vcc
	v_addc_co_u32_e32 v7, vcc, 0, v7, vcc
	v_add_co_u32_e32 v3, vcc, v3, v6
	v_addc_co_u32_e32 v12, vcc, 0, v7, vcc
	v_mul_lo_u32 v13, s57, v3
	v_mul_lo_u32 v14, s56, v12
	v_mad_u64_u32 v[6:7], s[4:5], s56, v3, 0
	v_add3_u32 v7, v7, v14, v13
	v_sub_u32_e32 v13, v16, v7
	v_mov_b32_e32 v14, s57
	v_sub_co_u32_e32 v6, vcc, v17, v6
	v_subb_co_u32_e64 v13, s[4:5], v13, v14, vcc
	v_subrev_co_u32_e64 v14, s[4:5], s56, v6
	v_subbrev_co_u32_e64 v13, s[4:5], 0, v13, s[4:5]
	v_cmp_le_u32_e64 s[4:5], s57, v13
	v_cndmask_b32_e64 v17, 0, -1, s[4:5]
	v_cmp_le_u32_e64 s[4:5], s56, v14
	v_cndmask_b32_e64 v14, 0, -1, s[4:5]
	v_cmp_eq_u32_e64 s[4:5], s57, v13
	v_cndmask_b32_e64 v13, v17, v14, s[4:5]
	v_add_co_u32_e64 v14, s[4:5], 2, v3
	v_subb_co_u32_e32 v7, vcc, v16, v7, vcc
	v_addc_co_u32_e64 v17, s[4:5], 0, v12, s[4:5]
	v_cmp_le_u32_e32 vcc, s57, v7
	v_add_co_u32_e64 v18, s[4:5], 1, v3
	v_cndmask_b32_e64 v16, 0, -1, vcc
	v_cmp_le_u32_e32 vcc, s56, v6
	v_addc_co_u32_e64 v19, s[4:5], 0, v12, s[4:5]
	v_cndmask_b32_e64 v6, 0, -1, vcc
	v_cmp_eq_u32_e32 vcc, s57, v7
	v_cmp_ne_u32_e64 s[4:5], 0, v13
	v_cndmask_b32_e32 v6, v16, v6, vcc
	v_cndmask_b32_e64 v13, v19, v17, s[4:5]
	v_cmp_ne_u32_e32 vcc, 0, v6
	v_cndmask_b32_e64 v7, v18, v14, s[4:5]
	v_cndmask_b32_e32 v6, v12, v13, vcc
	v_cndmask_b32_e32 v3, v3, v7, vcc
	v_xor_b32_e32 v12, s54, v15
	v_xor_b32_e32 v7, s55, v15
	;; [unrolled: 1-line block ×4, first 2 shown]
	v_sub_co_u32_e32 v6, vcc, v3, v12
	v_subb_co_u32_e32 v7, vcc, v13, v7, vcc
                                        ; implicit-def: $vgpr12
.LBB24_20:                              ;   in Loop: Header=BB24_3 Depth=1
	s_andn2_saveexec_b64 s[4:5], s[52:53]
	s_cbranch_execz .LBB24_22
; %bb.21:                               ;   in Loop: Header=BB24_3 Depth=1
	v_cvt_f32_u32_e32 v3, s71
	s_sub_i32 s52, 0, s71
	v_rcp_iflag_f32_e32 v3, v3
	v_mul_f32_e32 v3, 0x4f7ffffe, v3
	v_cvt_u32_f32_e32 v3, v3
	v_mul_lo_u32 v6, s52, v3
	v_mul_hi_u32 v6, v3, v6
	v_add_u32_e32 v3, v3, v6
	v_mul_hi_u32 v3, v12, v3
	v_mul_lo_u32 v6, v3, s71
	v_sub_u32_e32 v6, v12, v6
	v_add_u32_e32 v7, 1, v3
	v_subrev_u32_e32 v12, s71, v6
	v_cmp_le_u32_e32 vcc, s71, v6
	v_cndmask_b32_e32 v6, v6, v12, vcc
	v_cndmask_b32_e32 v3, v3, v7, vcc
	v_add_u32_e32 v7, 1, v3
	v_cmp_le_u32_e32 vcc, s71, v6
	v_cndmask_b32_e32 v6, v3, v7, vcc
	v_mov_b32_e32 v7, v2
.LBB24_22:                              ;   in Loop: Header=BB24_3 Depth=1
	s_or_b64 exec, exec, s[4:5]
	v_add_co_u32_e32 v6, vcc, 1, v6
	v_addc_co_u32_e32 v7, vcc, 0, v7, vcc
.LBB24_23:                              ;   in Loop: Header=BB24_3 Depth=1
	s_or_b64 exec, exec, s[6:7]
	v_or_b32_e32 v3, s70, v11
	v_cmp_ne_u64_e32 vcc, 0, v[2:3]
                                        ; implicit-def: $vgpr12_vgpr13
	s_and_saveexec_b64 s[4:5], vcc
	s_xor_b64 s[6:7], exec, s[4:5]
	s_cbranch_execnz .LBB24_26
; %bb.24:                               ;   in Loop: Header=BB24_3 Depth=1
	s_andn2_saveexec_b64 s[4:5], s[6:7]
	s_cbranch_execnz .LBB24_27
.LBB24_25:                              ;   in Loop: Header=BB24_3 Depth=1
	s_or_b64 exec, exec, s[4:5]
	s_andn2_b64 vcc, exec, s[0:1]
	s_cbranch_vccnz .LBB24_2
	s_branch .LBB24_28
.LBB24_26:                              ;   in Loop: Header=BB24_3 Depth=1
	s_add_u32 s4, s71, s70
	s_mov_b32 s52, s70
	s_mov_b32 s53, s70
	s_addc_u32 s5, s70, s70
	s_xor_b64 s[54:55], s[4:5], s[52:53]
	v_cvt_f32_u32_e32 v3, s54
	v_cvt_f32_u32_e32 v12, s55
	s_sub_u32 s4, 0, s54
	s_subb_u32 s5, 0, s55
	v_mac_f32_e32 v3, 0x4f800000, v12
	v_rcp_f32_e32 v3, v3
	v_mul_f32_e32 v3, 0x5f7ffffc, v3
	v_mul_f32_e32 v12, 0x2f800000, v3
	v_trunc_f32_e32 v12, v12
	v_mac_f32_e32 v3, 0xcf800000, v12
	v_cvt_u32_f32_e32 v12, v12
	v_cvt_u32_f32_e32 v3, v3
	v_mul_lo_u32 v13, s4, v12
	v_mul_hi_u32 v15, s4, v3
	v_mul_lo_u32 v14, s5, v3
	v_add_u32_e32 v13, v15, v13
	v_mul_lo_u32 v16, s4, v3
	v_add_u32_e32 v13, v13, v14
	v_mul_lo_u32 v15, v3, v13
	v_mul_hi_u32 v17, v3, v16
	v_mul_hi_u32 v14, v3, v13
	v_add_co_u32_e32 v15, vcc, v17, v15
	v_addc_co_u32_e32 v14, vcc, 0, v14, vcc
	v_mul_hi_u32 v18, v12, v16
	v_mul_lo_u32 v16, v12, v16
	v_add_co_u32_e32 v15, vcc, v15, v16
	v_mul_hi_u32 v17, v12, v13
	v_addc_co_u32_e32 v14, vcc, v14, v18, vcc
	v_addc_co_u32_e32 v15, vcc, 0, v17, vcc
	v_mul_lo_u32 v13, v12, v13
	v_add_co_u32_e32 v13, vcc, v14, v13
	v_addc_co_u32_e32 v14, vcc, 0, v15, vcc
	v_add_co_u32_e32 v3, vcc, v3, v13
	v_addc_co_u32_e32 v12, vcc, v12, v14, vcc
	v_mul_lo_u32 v13, s4, v12
	v_mul_hi_u32 v14, s4, v3
	v_add_u32_e32 v13, v14, v13
	v_mul_lo_u32 v14, s5, v3
	v_add_u32_e32 v13, v13, v14
	v_mul_lo_u32 v15, s4, v3
	v_mul_hi_u32 v16, v12, v15
	v_mul_lo_u32 v17, v12, v15
	v_mul_lo_u32 v19, v3, v13
	v_mul_hi_u32 v15, v3, v15
	v_mul_hi_u32 v18, v3, v13
	v_add_co_u32_e32 v15, vcc, v15, v19
	v_addc_co_u32_e32 v18, vcc, 0, v18, vcc
	v_add_co_u32_e32 v15, vcc, v15, v17
	v_mul_hi_u32 v14, v12, v13
	v_addc_co_u32_e32 v15, vcc, v18, v16, vcc
	v_addc_co_u32_e32 v14, vcc, 0, v14, vcc
	v_mul_lo_u32 v13, v12, v13
	v_add_co_u32_e32 v13, vcc, v15, v13
	v_addc_co_u32_e32 v14, vcc, 0, v14, vcc
	v_add_co_u32_e32 v3, vcc, v3, v13
	v_addc_co_u32_e32 v12, vcc, v12, v14, vcc
	v_ashrrev_i32_e32 v14, 31, v11
	v_add_co_u32_e32 v10, vcc, v10, v14
	v_addc_co_u32_e32 v11, vcc, v11, v14, vcc
	v_xor_b32_e32 v16, v10, v14
	v_xor_b32_e32 v15, v11, v14
	v_mad_u64_u32 v[10:11], s[4:5], v16, v12, 0
	v_mul_hi_u32 v13, v16, v3
	v_add_co_u32_e32 v17, vcc, v13, v10
	v_addc_co_u32_e32 v18, vcc, 0, v11, vcc
	v_mad_u64_u32 v[10:11], s[4:5], v15, v12, 0
	v_mad_u64_u32 v[12:13], s[4:5], v15, v3, 0
	v_add_co_u32_e32 v3, vcc, v17, v12
	v_addc_co_u32_e32 v3, vcc, v18, v13, vcc
	v_addc_co_u32_e32 v11, vcc, 0, v11, vcc
	v_add_co_u32_e32 v3, vcc, v3, v10
	v_addc_co_u32_e32 v12, vcc, 0, v11, vcc
	v_mul_lo_u32 v13, s55, v3
	v_mul_lo_u32 v17, s54, v12
	v_mad_u64_u32 v[10:11], s[4:5], s54, v3, 0
	v_add3_u32 v11, v11, v17, v13
	v_sub_u32_e32 v13, v15, v11
	v_mov_b32_e32 v17, s55
	v_sub_co_u32_e32 v10, vcc, v16, v10
	v_subb_co_u32_e64 v13, s[4:5], v13, v17, vcc
	v_subrev_co_u32_e64 v16, s[4:5], s54, v10
	v_subbrev_co_u32_e64 v13, s[4:5], 0, v13, s[4:5]
	v_cmp_le_u32_e64 s[4:5], s55, v13
	v_cndmask_b32_e64 v17, 0, -1, s[4:5]
	v_cmp_le_u32_e64 s[4:5], s54, v16
	v_cndmask_b32_e64 v16, 0, -1, s[4:5]
	v_cmp_eq_u32_e64 s[4:5], s55, v13
	v_cndmask_b32_e64 v13, v17, v16, s[4:5]
	v_add_co_u32_e64 v16, s[4:5], 2, v3
	v_subb_co_u32_e32 v11, vcc, v15, v11, vcc
	v_addc_co_u32_e64 v17, s[4:5], 0, v12, s[4:5]
	v_cmp_le_u32_e32 vcc, s55, v11
	v_add_co_u32_e64 v18, s[4:5], 1, v3
	v_cndmask_b32_e64 v15, 0, -1, vcc
	v_cmp_le_u32_e32 vcc, s54, v10
	v_addc_co_u32_e64 v19, s[4:5], 0, v12, s[4:5]
	v_cndmask_b32_e64 v10, 0, -1, vcc
	v_cmp_eq_u32_e32 vcc, s55, v11
	v_cmp_ne_u32_e64 s[4:5], 0, v13
	v_cndmask_b32_e32 v10, v15, v10, vcc
	v_cndmask_b32_e64 v13, v19, v17, s[4:5]
	v_cmp_ne_u32_e32 vcc, 0, v10
	v_cndmask_b32_e64 v11, v18, v16, s[4:5]
	v_cndmask_b32_e32 v10, v12, v13, vcc
	v_cndmask_b32_e32 v3, v3, v11, vcc
	v_xor_b32_e32 v12, s52, v14
	v_xor_b32_e32 v11, s53, v14
	v_xor_b32_e32 v3, v3, v12
	v_xor_b32_e32 v10, v10, v11
	v_sub_co_u32_e32 v12, vcc, v3, v12
	v_subb_co_u32_e32 v13, vcc, v10, v11, vcc
                                        ; implicit-def: $vgpr10
	s_andn2_saveexec_b64 s[4:5], s[6:7]
	s_cbranch_execz .LBB24_25
.LBB24_27:                              ;   in Loop: Header=BB24_3 Depth=1
	v_cvt_f32_u32_e32 v3, s71
	s_sub_i32 s6, 0, s71
	v_mov_b32_e32 v13, v2
	v_rcp_iflag_f32_e32 v3, v3
	v_mul_f32_e32 v3, 0x4f7ffffe, v3
	v_cvt_u32_f32_e32 v3, v3
	v_mul_lo_u32 v11, s6, v3
	v_mul_hi_u32 v11, v3, v11
	v_add_u32_e32 v3, v3, v11
	v_mul_hi_u32 v3, v10, v3
	v_mul_lo_u32 v11, v3, s71
	v_sub_u32_e32 v10, v10, v11
	v_add_u32_e32 v12, 1, v3
	v_subrev_u32_e32 v11, s71, v10
	v_cmp_le_u32_e32 vcc, s71, v10
	v_cndmask_b32_e32 v10, v10, v11, vcc
	v_cndmask_b32_e32 v3, v3, v12, vcc
	v_add_u32_e32 v11, 1, v3
	v_cmp_le_u32_e32 vcc, s71, v10
	v_cndmask_b32_e32 v12, v3, v11, vcc
	s_or_b64 exec, exec, s[4:5]
	s_andn2_b64 vcc, exec, s[0:1]
	s_cbranch_vccnz .LBB24_2
.LBB24_28:                              ;   in Loop: Header=BB24_3 Depth=1
	v_add_co_u32_e32 v10, vcc, 1, v12
	v_addc_co_u32_e32 v11, vcc, 0, v13, vcc
	v_mov_b32_e32 v3, s27
	v_cmp_gt_i64_e32 vcc, s[26:27], v[10:11]
	v_cndmask_b32_e32 v11, v3, v11, vcc
	v_mov_b32_e32 v3, s26
	v_cndmask_b32_e32 v10, v3, v10, vcc
	v_add_co_u32_e32 v8, vcc, 1, v8
	v_addc_co_u32_e32 v9, vcc, 0, v9, vcc
	v_mov_b32_e32 v3, s25
	v_cmp_gt_i64_e32 vcc, s[24:25], v[8:9]
	v_cndmask_b32_e32 v9, v3, v9, vcc
	v_mov_b32_e32 v3, s24
	v_lshlrev_b64 v[12:13], 1, v[0:1]
	v_cndmask_b32_e32 v8, v3, v8, vcc
	v_mov_b32_e32 v14, s31
	v_add_co_u32_e32 v3, vcc, s30, v12
	v_addc_co_u32_e32 v34, vcc, v14, v13, vcc
	v_mov_b32_e32 v12, s74
	v_add_co_u32_e32 v13, vcc, s75, v4
	s_load_dword s76, s[28:29], 0x4
	v_addc_co_u32_e32 v12, vcc, v12, v5, vcc
	v_mul_lo_u32 v12, s26, v12
	v_mul_lo_u32 v16, s27, v13
	v_mad_u64_u32 v[14:15], s[52:53], s26, v13, v[6:7]
	v_add3_u32 v15, v16, v15, v12
	v_lshlrev_b64 v[12:13], 3, v[14:15]
	v_mov_b32_e32 v16, s15
	v_add_co_u32_e32 v12, vcc, s14, v12
	v_addc_co_u32_e32 v13, vcc, v16, v13, vcc
	s_waitcnt lgkmcnt(0)
	s_mul_i32 s52, s39, s76
	s_mul_hi_u32 s53, s38, s76
	v_lshlrev_b64 v[14:15], 1, v[14:15]
	s_add_i32 s77, s53, s52
	v_mov_b32_e32 v16, s13
	v_add_co_u32_e32 v14, vcc, s12, v14
	s_mul_i32 s52, s45, s76
	s_mul_hi_u32 s53, s44, s76
	v_cmp_lt_i64_e64 s[4:5], v[4:5], v[8:9]
	v_cmp_lt_i64_e64 s[6:7], v[6:7], v[10:11]
	s_mul_i32 s78, s38, s76
	v_addc_co_u32_e32 v15, vcc, v16, v15, vcc
	s_add_i32 s79, s53, s52
	s_mul_i32 s80, s44, s76
	s_mov_b64 s[52:53], s[10:11]
	s_branch .LBB24_30
.LBB24_29:                              ;   in Loop: Header=BB24_30 Depth=2
	v_mov_b32_e32 v16, s77
	v_add_co_u32_e32 v12, vcc, s78, v12
	v_addc_co_u32_e32 v13, vcc, v13, v16, vcc
	s_add_u32 s52, s52, s76
	v_mov_b32_e32 v16, s79
	v_add_co_u32_e32 v14, vcc, s80, v14
	s_addc_u32 s53, s53, 0
	v_addc_co_u32_e32 v15, vcc, v15, v16, vcc
	v_pk_mov_b32 v[16:17], s[16:17], s[16:17] op_sel:[0,1]
	v_cmp_ge_i64_e32 vcc, s[52:53], v[16:17]
	s_cbranch_vccnz .LBB24_2
.LBB24_30:                              ;   Parent Loop BB24_3 Depth=1
                                        ; =>  This Loop Header: Depth=2
                                        ;       Child Loop BB24_34 Depth 3
                                        ;         Child Loop BB24_38 Depth 4
                                        ;           Child Loop BB24_41 Depth 5
	s_andn2_b64 vcc, exec, s[2:3]
	s_cbranch_vccnz .LBB24_29
; %bb.31:                               ;   in Loop: Header=BB24_30 Depth=2
	s_load_dword s81, s[28:29], 0x8
	s_mul_i32 s54, s52, s19
	s_mul_hi_u32 s55, s52, s18
	s_add_i32 s54, s55, s54
	s_mul_i32 s55, s53, s18
	s_add_i32 s82, s54, s55
	s_waitcnt lgkmcnt(0)
	s_mul_i32 s54, s41, s81
	s_mul_hi_u32 s55, s40, s81
	s_add_i32 s84, s55, s54
	s_mul_i32 s54, s47, s81
	s_mul_hi_u32 s55, s46, s81
	s_mul_i32 s83, s52, s18
	s_mul_i32 s85, s40, s81
	s_add_i32 s86, s55, s54
	s_mul_i32 s87, s46, s81
	v_pk_mov_b32 v[16:17], v[14:15], v[14:15] op_sel:[0,1]
	v_pk_mov_b32 v[18:19], v[12:13], v[12:13] op_sel:[0,1]
	s_mov_b64 s[54:55], s[8:9]
	s_branch .LBB24_34
.LBB24_32:                              ;   in Loop: Header=BB24_34 Depth=3
	s_or_b64 exec, exec, s[58:59]
.LBB24_33:                              ;   in Loop: Header=BB24_34 Depth=3
	s_or_b64 exec, exec, s[56:57]
	s_add_u32 s56, s54, s83
	s_addc_u32 s57, s55, s82
	s_mul_i32 s57, s20, s57
	s_mul_hi_u32 s58, s20, s56
	s_add_i32 s57, s58, s57
	s_mul_i32 s58, s21, s56
	v_cvt_f16_f32_e32 v22, v35
	s_add_i32 s57, s57, s58
	s_mul_i32 s56, s20, s56
	s_lshl_b64 s[56:57], s[56:57], 1
	v_mov_b32_e32 v21, s57
	v_add_co_u32_e32 v20, vcc, s56, v3
	v_addc_co_u32_e32 v21, vcc, v34, v21, vcc
	global_store_short v[20:21], v22, off
	v_mov_b32_e32 v20, s84
	v_add_co_u32_e32 v18, vcc, s85, v18
	v_addc_co_u32_e32 v19, vcc, v19, v20, vcc
	s_add_u32 s54, s54, s81
	v_mov_b32_e32 v20, s86
	v_add_co_u32_e32 v16, vcc, s87, v16
	s_addc_u32 s55, s55, 0
	v_addc_co_u32_e32 v17, vcc, v17, v20, vcc
	v_pk_mov_b32 v[20:21], s[18:19], s[18:19] op_sel:[0,1]
	v_cmp_ge_i64_e32 vcc, s[54:55], v[20:21]
	s_cbranch_vccnz .LBB24_29
.LBB24_34:                              ;   Parent Loop BB24_3 Depth=1
                                        ;     Parent Loop BB24_30 Depth=2
                                        ; =>    This Loop Header: Depth=3
                                        ;         Child Loop BB24_38 Depth 4
                                        ;           Child Loop BB24_41 Depth 5
	v_mov_b32_e32 v35, 0
	s_and_saveexec_b64 s[56:57], s[4:5]
	s_cbranch_execz .LBB24_33
; %bb.35:                               ;   in Loop: Header=BB24_34 Depth=3
	s_mov_b64 s[58:59], 0
	v_mov_b32_e32 v35, 0
	v_pk_mov_b32 v[20:21], v[16:17], v[16:17] op_sel:[0,1]
	v_pk_mov_b32 v[22:23], v[18:19], v[18:19] op_sel:[0,1]
	;; [unrolled: 1-line block ×3, first 2 shown]
	s_branch .LBB24_38
.LBB24_36:                              ;   in Loop: Header=BB24_38 Depth=4
	s_or_b64 exec, exec, s[62:63]
.LBB24_37:                              ;   in Loop: Header=BB24_38 Depth=4
	s_or_b64 exec, exec, s[60:61]
	v_add_co_u32_e32 v24, vcc, 1, v24
	v_addc_co_u32_e32 v25, vcc, 0, v25, vcc
	v_mov_b32_e32 v26, s43
	v_add_co_u32_e32 v22, vcc, s42, v22
	v_addc_co_u32_e32 v23, vcc, v23, v26, vcc
	v_cmp_ge_i64_e32 vcc, v[24:25], v[8:9]
	v_mov_b32_e32 v26, s49
	s_or_b64 s[58:59], vcc, s[58:59]
	v_add_co_u32_e32 v20, vcc, s48, v20
	v_addc_co_u32_e32 v21, vcc, v21, v26, vcc
	s_andn2_b64 exec, exec, s[58:59]
	s_cbranch_execz .LBB24_32
.LBB24_38:                              ;   Parent Loop BB24_3 Depth=1
                                        ;     Parent Loop BB24_30 Depth=2
                                        ;       Parent Loop BB24_34 Depth=3
                                        ; =>      This Loop Header: Depth=4
                                        ;           Child Loop BB24_41 Depth 5
	s_and_saveexec_b64 s[60:61], s[6:7]
	s_cbranch_execz .LBB24_37
; %bb.39:                               ;   in Loop: Header=BB24_38 Depth=4
	s_mov_b64 s[62:63], 0
	v_pk_mov_b32 v[26:27], v[20:21], v[20:21] op_sel:[0,1]
	v_pk_mov_b32 v[28:29], v[22:23], v[22:23] op_sel:[0,1]
	;; [unrolled: 1-line block ×3, first 2 shown]
	s_branch .LBB24_41
.LBB24_40:                              ;   in Loop: Header=BB24_41 Depth=5
	s_or_b64 exec, exec, s[64:65]
	v_add_co_u32_e32 v30, vcc, 1, v30
	v_addc_co_u32_e32 v31, vcc, 0, v31, vcc
	v_add_co_u32_e32 v28, vcc, 8, v28
	v_addc_co_u32_e32 v29, vcc, 0, v29, vcc
	v_cmp_ge_i64_e32 vcc, v[30:31], v[10:11]
	s_or_b64 s[62:63], vcc, s[62:63]
	v_add_co_u32_e32 v26, vcc, 2, v26
	v_addc_co_u32_e32 v27, vcc, 0, v27, vcc
	s_andn2_b64 exec, exec, s[62:63]
	s_cbranch_execz .LBB24_36
.LBB24_41:                              ;   Parent Loop BB24_3 Depth=1
                                        ;     Parent Loop BB24_30 Depth=2
                                        ;       Parent Loop BB24_34 Depth=3
                                        ;         Parent Loop BB24_38 Depth=4
                                        ; =>        This Inner Loop Header: Depth=5
	global_load_dwordx2 v[36:37], v[28:29], off
	s_waitcnt vmcnt(0)
	v_cmp_eq_u64_e32 vcc, v[36:37], v[0:1]
	s_and_saveexec_b64 s[64:65], vcc
	s_cbranch_execz .LBB24_40
; %bb.42:                               ;   in Loop: Header=BB24_41 Depth=5
	global_load_ushort v36, v[26:27], off
	s_waitcnt vmcnt(0)
	v_cvt_f32_f16_e32 v36, v36
	v_add_f32_e32 v35, v35, v36
	s_branch .LBB24_40
.LBB24_43:
	s_endpgm
	.section	.rodata,"a",@progbits
	.p2align	6, 0x0
	.amdhsa_kernel _ZN2at6native12_GLOBAL__N_122max_pool_backward_nchwIN3c104HalfEflEEvPKT_PKlT1_SA_SA_SA_SA_SA_iiiiiiiiPS5_
		.amdhsa_group_segment_fixed_size 0
		.amdhsa_private_segment_fixed_size 0
		.amdhsa_kernarg_size 360
		.amdhsa_user_sgpr_count 6
		.amdhsa_user_sgpr_private_segment_buffer 1
		.amdhsa_user_sgpr_dispatch_ptr 0
		.amdhsa_user_sgpr_queue_ptr 0
		.amdhsa_user_sgpr_kernarg_segment_ptr 1
		.amdhsa_user_sgpr_dispatch_id 0
		.amdhsa_user_sgpr_flat_scratch_init 0
		.amdhsa_user_sgpr_kernarg_preload_length 0
		.amdhsa_user_sgpr_kernarg_preload_offset 0
		.amdhsa_user_sgpr_private_segment_size 0
		.amdhsa_uses_dynamic_stack 0
		.amdhsa_system_sgpr_private_segment_wavefront_offset 0
		.amdhsa_system_sgpr_workgroup_id_x 1
		.amdhsa_system_sgpr_workgroup_id_y 1
		.amdhsa_system_sgpr_workgroup_id_z 1
		.amdhsa_system_sgpr_workgroup_info 0
		.amdhsa_system_vgpr_workitem_id 0
		.amdhsa_next_free_vgpr 38
		.amdhsa_next_free_sgpr 88
		.amdhsa_accum_offset 40
		.amdhsa_reserve_vcc 1
		.amdhsa_reserve_flat_scratch 0
		.amdhsa_float_round_mode_32 0
		.amdhsa_float_round_mode_16_64 0
		.amdhsa_float_denorm_mode_32 3
		.amdhsa_float_denorm_mode_16_64 3
		.amdhsa_dx10_clamp 1
		.amdhsa_ieee_mode 1
		.amdhsa_fp16_overflow 0
		.amdhsa_tg_split 0
		.amdhsa_exception_fp_ieee_invalid_op 0
		.amdhsa_exception_fp_denorm_src 0
		.amdhsa_exception_fp_ieee_div_zero 0
		.amdhsa_exception_fp_ieee_overflow 0
		.amdhsa_exception_fp_ieee_underflow 0
		.amdhsa_exception_fp_ieee_inexact 0
		.amdhsa_exception_int_div_zero 0
	.end_amdhsa_kernel
	.section	.text._ZN2at6native12_GLOBAL__N_122max_pool_backward_nchwIN3c104HalfEflEEvPKT_PKlT1_SA_SA_SA_SA_SA_iiiiiiiiPS5_,"axG",@progbits,_ZN2at6native12_GLOBAL__N_122max_pool_backward_nchwIN3c104HalfEflEEvPKT_PKlT1_SA_SA_SA_SA_SA_iiiiiiiiPS5_,comdat
.Lfunc_end24:
	.size	_ZN2at6native12_GLOBAL__N_122max_pool_backward_nchwIN3c104HalfEflEEvPKT_PKlT1_SA_SA_SA_SA_SA_iiiiiiiiPS5_, .Lfunc_end24-_ZN2at6native12_GLOBAL__N_122max_pool_backward_nchwIN3c104HalfEflEEvPKT_PKlT1_SA_SA_SA_SA_SA_iiiiiiiiPS5_
                                        ; -- End function
	.section	.AMDGPU.csdata,"",@progbits
; Kernel info:
; codeLenInByte = 5328
; NumSgprs: 92
; NumVgprs: 38
; NumAgprs: 0
; TotalNumVgprs: 38
; ScratchSize: 0
; MemoryBound: 0
; FloatMode: 240
; IeeeMode: 1
; LDSByteSize: 0 bytes/workgroup (compile time only)
; SGPRBlocks: 11
; VGPRBlocks: 4
; NumSGPRsForWavesPerEU: 92
; NumVGPRsForWavesPerEU: 38
; AccumOffset: 40
; Occupancy: 8
; WaveLimiterHint : 0
; COMPUTE_PGM_RSRC2:SCRATCH_EN: 0
; COMPUTE_PGM_RSRC2:USER_SGPR: 6
; COMPUTE_PGM_RSRC2:TRAP_HANDLER: 0
; COMPUTE_PGM_RSRC2:TGID_X_EN: 1
; COMPUTE_PGM_RSRC2:TGID_Y_EN: 1
; COMPUTE_PGM_RSRC2:TGID_Z_EN: 1
; COMPUTE_PGM_RSRC2:TIDIG_COMP_CNT: 0
; COMPUTE_PGM_RSRC3_GFX90A:ACCUM_OFFSET: 9
; COMPUTE_PGM_RSRC3_GFX90A:TG_SPLIT: 0
	.section	.text._ZN2at6native12_GLOBAL__N_122max_pool_backward_nhwcIN3c108BFloat16EfEEvPKT_PKlillliiiiiiiiiiiiiiiPS5_,"axG",@progbits,_ZN2at6native12_GLOBAL__N_122max_pool_backward_nhwcIN3c108BFloat16EfEEvPKT_PKlillliiiiiiiiiiiiiiiPS5_,comdat
	.globl	_ZN2at6native12_GLOBAL__N_122max_pool_backward_nhwcIN3c108BFloat16EfEEvPKT_PKlillliiiiiiiiiiiiiiiPS5_ ; -- Begin function _ZN2at6native12_GLOBAL__N_122max_pool_backward_nhwcIN3c108BFloat16EfEEvPKT_PKlillliiiiiiiiiiiiiiiPS5_
	.p2align	8
	.type	_ZN2at6native12_GLOBAL__N_122max_pool_backward_nhwcIN3c108BFloat16EfEEvPKT_PKlillliiiiiiiiiiiiiiiPS5_,@function
_ZN2at6native12_GLOBAL__N_122max_pool_backward_nhwcIN3c108BFloat16EfEEvPKT_PKlillliiiiiiiiiiiiiiiPS5_: ; @_ZN2at6native12_GLOBAL__N_122max_pool_backward_nhwcIN3c108BFloat16EfEEvPKT_PKlillliiiiiiiiiiiiiiiPS5_
; %bb.0:
	s_load_dword s38, s[4:5], 0x10
	s_load_dwordx4 s[0:3], s[4:5], 0x7c
	s_load_dwordx8 s[12:19], s[4:5], 0x30
	s_load_dwordx8 s[20:27], s[4:5], 0x50
	v_and_b32_e32 v2, 0x3ff, v0
	s_waitcnt lgkmcnt(0)
	v_cvt_f32_u32_e32 v1, s38
	v_bfe_u32 v4, v0, 10, 10
	v_bfe_u32 v5, v0, 20, 10
	s_lshr_b32 s52, s2, 16
	v_rcp_iflag_f32_e32 v1, v1
	s_and_b32 s9, s2, 0xffff
	v_mad_u32_u24 v3, v5, s52, v4
	s_and_b32 s33, s3, 0xffff
	v_mul_f32_e32 v0, 0x4f7ffffe, v1
	v_cvt_u32_f32_e32 v6, v0
	v_mad_u64_u32 v[0:1], s[2:3], v3, s9, v[2:3]
	s_sub_i32 s2, 0, s38
	v_readfirstlane_b32 s3, v6
	s_mul_i32 s2, s2, s3
	s_mul_hi_u32 s2, s3, s2
	s_add_i32 s3, s3, s2
	s_mul_i32 s2, s9, s26
	s_mul_i32 s28, s2, s52
	;; [unrolled: 1-line block ×3, first 2 shown]
	s_mul_hi_u32 s27, s6, s3
	v_cmp_gt_u32_e32 vcc, s28, v0
	s_and_saveexec_b64 s[2:3], vcc
	s_cbranch_execz .LBB25_3
; %bb.1:
	s_mul_i32 s29, s52, s9
	s_mul_i32 s29, s29, s33
	v_lshl_add_u32 v1, v0, 2, 0
	s_lshl_b32 s30, s29, 2
	s_mov_b64 s[10:11], 0
	v_mov_b32_e32 v6, 0
.LBB25_2:                               ; =>This Inner Loop Header: Depth=1
	v_add_u32_e32 v0, s29, v0
	v_cmp_le_u32_e32 vcc, s28, v0
	ds_write_b32 v1, v6
	s_or_b64 s[10:11], vcc, s[10:11]
	v_add_u32_e32 v1, s30, v1
	s_andn2_b64 exec, exec, s[10:11]
	s_cbranch_execnz .LBB25_2
.LBB25_3:
	s_or_b64 exec, exec, s[2:3]
	s_load_dwordx4 s[28:31], s[4:5], 0x18
	s_load_dwordx2 s[10:11], s[4:5], 0x28
	s_mov_b32 s2, 0
	s_mov_b64 s[34:35], -1
	v_cvt_f32_ubyte0_e32 v0, 0
	s_waitcnt lgkmcnt(0)
	s_add_u32 s3, s30, s1
	s_addc_u32 s37, s31, 0
	s_add_u32 s36, s3, -1
	s_addc_u32 s3, s37, -1
	s_cmp_lg_u64 s[2:3], 0
	s_barrier
	s_cbranch_scc0 .LBB25_60
; %bb.4:
	v_cvt_f32_u32_e32 v1, s1
	s_sub_u32 s2, 0, s1
	s_subb_u32 s37, 0, 0
	v_madmk_f32 v1, v0, 0x4f800000, v1
	v_rcp_f32_e32 v1, v1
	v_mul_f32_e32 v1, 0x5f7ffffc, v1
	v_mul_f32_e32 v6, 0x2f800000, v1
	v_trunc_f32_e32 v6, v6
	v_madmk_f32 v1, v6, 0xcf800000, v1
	v_cvt_u32_f32_e32 v6, v6
	v_cvt_u32_f32_e32 v1, v1
	v_readfirstlane_b32 s39, v6
	v_readfirstlane_b32 s40, v1
	s_mul_i32 s41, s2, s39
	s_mul_hi_u32 s43, s2, s40
	s_mul_i32 s42, s37, s40
	s_add_i32 s41, s43, s41
	s_mul_i32 s44, s2, s40
	s_add_i32 s41, s41, s42
	s_mul_hi_u32 s42, s40, s41
	s_mul_i32 s43, s40, s41
	s_mul_hi_u32 s40, s40, s44
	s_add_u32 s40, s40, s43
	s_addc_u32 s42, 0, s42
	s_mul_hi_u32 s45, s39, s44
	s_mul_i32 s44, s39, s44
	s_add_u32 s40, s40, s44
	s_mul_hi_u32 s43, s39, s41
	s_addc_u32 s40, s42, s45
	s_addc_u32 s42, s43, 0
	s_mul_i32 s41, s39, s41
	s_add_u32 s40, s40, s41
	s_addc_u32 s41, 0, s42
	v_add_co_u32_e32 v1, vcc, s40, v1
	s_cmp_lg_u64 vcc, 0
	s_addc_u32 s39, s39, s41
	v_readfirstlane_b32 s41, v1
	s_mul_i32 s40, s2, s39
	s_mul_hi_u32 s42, s2, s41
	s_add_i32 s40, s42, s40
	s_mul_i32 s37, s37, s41
	s_add_i32 s40, s40, s37
	s_mul_i32 s2, s2, s41
	s_mul_hi_u32 s42, s39, s2
	s_mul_i32 s43, s39, s2
	s_mul_i32 s45, s41, s40
	s_mul_hi_u32 s2, s41, s2
	s_mul_hi_u32 s44, s41, s40
	s_add_u32 s2, s2, s45
	s_addc_u32 s41, 0, s44
	s_add_u32 s2, s2, s43
	s_mul_hi_u32 s37, s39, s40
	s_addc_u32 s2, s41, s42
	s_addc_u32 s37, s37, 0
	s_mul_i32 s40, s39, s40
	s_add_u32 s2, s2, s40
	s_addc_u32 s37, 0, s37
	v_add_co_u32_e32 v1, vcc, s2, v1
	s_cmp_lg_u64 vcc, 0
	s_addc_u32 s37, s39, s37
	s_ashr_i32 s40, s3, 31
	s_add_u32 s2, s36, s40
	s_mov_b32 s41, s40
	s_addc_u32 s3, s3, s40
	s_xor_b64 s[2:3], s[2:3], s[40:41]
	v_readfirstlane_b32 s43, v1
	s_mul_i32 s42, s2, s37
	s_mul_hi_u32 s44, s2, s43
	s_mul_hi_u32 s39, s2, s37
	s_add_u32 s42, s44, s42
	s_addc_u32 s39, 0, s39
	s_mul_hi_u32 s45, s3, s43
	s_mul_i32 s43, s3, s43
	s_add_u32 s42, s42, s43
	s_mul_hi_u32 s44, s3, s37
	s_addc_u32 s39, s39, s45
	s_addc_u32 s42, s44, 0
	s_mul_i32 s37, s3, s37
	s_add_u32 s37, s39, s37
	s_addc_u32 s39, 0, s42
	s_add_u32 s42, s37, 1
	s_addc_u32 s43, s39, 0
	s_add_u32 s44, s37, 2
	s_mul_i32 s46, s1, s39
	s_mul_hi_u32 s47, s1, s37
	s_addc_u32 s45, s39, 0
	s_add_i32 s47, s47, s46
	s_mul_i32 s46, s1, s37
	v_mov_b32_e32 v1, s46
	v_sub_co_u32_e32 v1, vcc, s2, v1
	s_cmp_lg_u64 vcc, 0
	s_subb_u32 s2, s3, s47
	v_subrev_co_u32_e32 v6, vcc, s1, v1
	s_cmp_lg_u64 vcc, 0
	s_subb_u32 s3, s2, 0
	v_readfirstlane_b32 s46, v6
	s_cmp_ge_u32 s46, s1
	s_cselect_b32 s46, -1, 0
	s_cmp_eq_u32 s3, 0
	s_cselect_b32 s3, s46, -1
	s_cmp_lg_u32 s3, 0
	s_cselect_b32 s3, s45, s43
	v_readfirstlane_b32 s43, v1
	s_cselect_b32 s42, s44, s42
	s_cmp_ge_u32 s43, s1
	s_cselect_b32 s43, -1, 0
	s_cmp_eq_u32 s2, 0
	s_cselect_b32 s2, s43, -1
	s_cmp_lg_u32 s2, 0
	s_cselect_b32 s3, s3, s39
	s_cselect_b32 s2, s42, s37
	s_xor_b64 s[2:3], s[2:3], s[40:41]
	s_sub_u32 s2, s2, s40
	s_subb_u32 s3, s3, s40
	s_cbranch_execnz .LBB25_6
.LBB25_5:
	v_cvt_f32_u32_e32 v1, s1
	s_sub_i32 s2, 0, s1
	s_mov_b32 s3, 0
	v_rcp_iflag_f32_e32 v1, v1
	v_mul_f32_e32 v1, 0x4f7ffffe, v1
	v_cvt_u32_f32_e32 v1, v1
	v_readfirstlane_b32 s34, v1
	s_mul_i32 s2, s2, s34
	s_mul_hi_u32 s2, s34, s2
	s_add_i32 s34, s34, s2
	s_mul_hi_u32 s2, s36, s34
	s_mul_i32 s35, s2, s1
	s_sub_i32 s35, s36, s35
	s_add_i32 s34, s2, 1
	s_sub_i32 s36, s35, s1
	s_cmp_ge_u32 s35, s1
	s_cselect_b32 s2, s34, s2
	s_cselect_b32 s35, s36, s35
	s_add_i32 s34, s2, 1
	s_cmp_ge_u32 s35, s1
	s_cselect_b32 s2, s34, s2
.LBB25_6:
	s_add_u32 s1, s10, s0
	s_addc_u32 s34, s11, 0
	s_add_u32 s1, s1, -1
	s_mov_b32 s36, 0
	s_addc_u32 s37, s34, -1
	s_cmp_lg_u64 s[36:37], 0
	s_mov_b64 s[34:35], -1
	s_cbranch_scc0 .LBB25_61
; %bb.7:
	v_cvt_f32_u32_e32 v1, s0
	s_sub_u32 s36, 0, s0
	s_subb_u32 s39, 0, 0
	v_madmk_f32 v0, v0, 0x4f800000, v1
	v_rcp_f32_e32 v0, v0
	v_mul_f32_e32 v0, 0x5f7ffffc, v0
	v_mul_f32_e32 v1, 0x2f800000, v0
	v_trunc_f32_e32 v1, v1
	v_madmk_f32 v0, v1, 0xcf800000, v0
	v_cvt_u32_f32_e32 v1, v1
	v_cvt_u32_f32_e32 v0, v0
	v_readfirstlane_b32 s40, v1
	v_readfirstlane_b32 s41, v0
	s_mul_i32 s42, s36, s40
	s_mul_hi_u32 s44, s36, s41
	s_mul_i32 s43, s39, s41
	s_add_i32 s42, s44, s42
	s_mul_i32 s45, s36, s41
	s_add_i32 s42, s42, s43
	s_mul_hi_u32 s43, s41, s42
	s_mul_i32 s44, s41, s42
	s_mul_hi_u32 s41, s41, s45
	s_add_u32 s41, s41, s44
	s_addc_u32 s43, 0, s43
	s_mul_hi_u32 s46, s40, s45
	s_mul_i32 s45, s40, s45
	s_add_u32 s41, s41, s45
	s_mul_hi_u32 s44, s40, s42
	s_addc_u32 s41, s43, s46
	s_addc_u32 s43, s44, 0
	s_mul_i32 s42, s40, s42
	s_add_u32 s41, s41, s42
	s_addc_u32 s42, 0, s43
	v_add_co_u32_e32 v0, vcc, s41, v0
	s_cmp_lg_u64 vcc, 0
	s_addc_u32 s40, s40, s42
	v_readfirstlane_b32 s42, v0
	s_mul_i32 s41, s36, s40
	s_mul_hi_u32 s43, s36, s42
	s_add_i32 s41, s43, s41
	s_mul_i32 s39, s39, s42
	s_add_i32 s41, s41, s39
	s_mul_i32 s36, s36, s42
	s_mul_hi_u32 s43, s40, s36
	s_mul_i32 s44, s40, s36
	s_mul_i32 s46, s42, s41
	s_mul_hi_u32 s36, s42, s36
	s_mul_hi_u32 s45, s42, s41
	s_add_u32 s36, s36, s46
	s_addc_u32 s42, 0, s45
	s_add_u32 s36, s36, s44
	s_mul_hi_u32 s39, s40, s41
	s_addc_u32 s36, s42, s43
	s_addc_u32 s39, s39, 0
	s_mul_i32 s41, s40, s41
	s_add_u32 s36, s36, s41
	s_addc_u32 s39, 0, s39
	v_add_co_u32_e32 v0, vcc, s36, v0
	s_cmp_lg_u64 vcc, 0
	s_addc_u32 s39, s40, s39
	s_ashr_i32 s40, s37, 31
	s_add_u32 s36, s1, s40
	s_mov_b32 s41, s40
	s_addc_u32 s37, s37, s40
	s_xor_b64 s[36:37], s[36:37], s[40:41]
	v_readfirstlane_b32 s44, v0
	s_mul_i32 s43, s36, s39
	s_mul_hi_u32 s45, s36, s44
	s_mul_hi_u32 s42, s36, s39
	s_add_u32 s43, s45, s43
	s_addc_u32 s42, 0, s42
	s_mul_hi_u32 s46, s37, s44
	s_mul_i32 s44, s37, s44
	s_add_u32 s43, s43, s44
	s_mul_hi_u32 s45, s37, s39
	s_addc_u32 s42, s42, s46
	s_addc_u32 s43, s45, 0
	s_mul_i32 s39, s37, s39
	s_add_u32 s39, s42, s39
	s_addc_u32 s42, 0, s43
	s_add_u32 s43, s39, 1
	s_addc_u32 s44, s42, 0
	s_add_u32 s45, s39, 2
	s_mul_i32 s47, s0, s42
	s_mul_hi_u32 s48, s0, s39
	s_addc_u32 s46, s42, 0
	s_add_i32 s48, s48, s47
	s_mul_i32 s47, s0, s39
	v_mov_b32_e32 v0, s47
	v_sub_co_u32_e32 v0, vcc, s36, v0
	s_cmp_lg_u64 vcc, 0
	s_subb_u32 s36, s37, s48
	v_subrev_co_u32_e32 v1, vcc, s0, v0
	s_cmp_lg_u64 vcc, 0
	s_subb_u32 s37, s36, 0
	v_readfirstlane_b32 s47, v1
	s_cmp_ge_u32 s47, s0
	s_cselect_b32 s47, -1, 0
	s_cmp_eq_u32 s37, 0
	s_cselect_b32 s37, s47, -1
	s_cmp_lg_u32 s37, 0
	s_cselect_b32 s37, s46, s44
	v_readfirstlane_b32 s44, v0
	s_cselect_b32 s43, s45, s43
	s_cmp_ge_u32 s44, s0
	s_cselect_b32 s44, -1, 0
	s_cmp_eq_u32 s36, 0
	s_cselect_b32 s36, s44, -1
	s_cmp_lg_u32 s36, 0
	s_cselect_b32 s37, s37, s42
	s_cselect_b32 s36, s43, s39
	s_xor_b64 s[36:37], s[36:37], s[40:41]
	s_sub_u32 s36, s36, s40
	s_subb_u32 s37, s37, s40
	s_cbranch_execnz .LBB25_9
.LBB25_8:
	v_cvt_f32_u32_e32 v0, s0
	s_sub_i32 s34, 0, s0
	s_mov_b32 s37, 0
	v_rcp_iflag_f32_e32 v0, v0
	v_mul_f32_e32 v0, 0x4f7ffffe, v0
	v_cvt_u32_f32_e32 v0, v0
	v_readfirstlane_b32 s35, v0
	s_mul_i32 s34, s34, s35
	s_mul_hi_u32 s34, s35, s34
	s_add_i32 s35, s35, s34
	s_mul_hi_u32 s34, s1, s35
	s_mul_i32 s36, s34, s0
	s_sub_i32 s1, s1, s36
	s_add_i32 s35, s34, 1
	s_sub_i32 s36, s1, s0
	s_cmp_ge_u32 s1, s0
	s_cselect_b32 s34, s35, s34
	s_cselect_b32 s1, s36, s1
	s_add_i32 s35, s34, 1
	s_cmp_ge_u32 s1, s0
	s_cselect_b32 s36, s35, s34
.LBB25_9:
	s_mul_i32 s8, s8, s2
	v_add_u32_e32 v18, s8, v5
	s_bfe_i64 s[0:1], s[2:3], 0x200000
	v_ashrrev_i32_e32 v1, 31, v18
	v_mov_b32_e32 v5, s1
	v_add_co_u32_e32 v0, vcc, s0, v18
	v_addc_co_u32_e32 v1, vcc, v5, v1, vcc
	v_mov_b32_e32 v5, s30
	v_cmp_gt_i64_e32 vcc, s[30:31], v[0:1]
	v_cndmask_b32_e32 v19, v5, v0, vcc
	v_cmp_lt_i32_e32 vcc, v18, v19
	s_and_saveexec_b64 s[0:1], vcc
	s_cbranch_execz .LBB25_59
; %bb.10:
	s_mul_i32 s7, s7, s36
	v_add_u32_e32 v20, s7, v4
	s_bfe_i64 s[0:1], s[36:37], 0x200000
	v_mov_b32_e32 v4, s1
	v_add_co_u32_e32 v0, vcc, s0, v20
	s_load_dwordx4 s[0:3], s[4:5], 0x0
	s_load_dwordx2 s[34:35], s[4:5], 0x70
	s_mul_i32 s4, s27, s38
	s_sub_i32 s4, s6, s4
	s_add_i32 s5, s27, 1
	s_sub_i32 s7, s4, s38
	s_cmp_ge_u32 s4, s38
	s_cselect_b32 s5, s5, s27
	s_cselect_b32 s4, s7, s4
	s_add_i32 s7, s5, 1
	s_cmp_ge_u32 s4, s38
	s_cselect_b32 s8, s7, s5
	s_mul_i32 s5, s30, s29
	s_mul_hi_u32 s7, s30, s28
	v_ashrrev_i32_e32 v1, 31, v20
	s_add_i32 s5, s7, s5
	s_mul_i32 s7, s31, s28
	v_addc_co_u32_e32 v1, vcc, v4, v1, vcc
	s_mul_i32 s4, s8, s38
	s_add_i32 s5, s5, s7
	s_mul_i32 s7, s30, s28
	v_cmp_gt_i64_e32 vcc, s[10:11], v[0:1]
	s_sub_i32 s6, s6, s4
	s_mul_i32 s11, s7, s11
	s_mul_hi_u32 s27, s7, s10
	s_ashr_i32 s4, s6, 31
	s_add_i32 s11, s27, s11
	s_mul_i32 s5, s5, s10
	s_mul_i32 s7, s7, s10
	s_add_i32 s5, s11, s5
	s_mul_i32 s4, s7, s4
	s_mul_hi_u32 s11, s7, s6
	s_mul_i32 s5, s5, s6
	s_add_i32 s4, s11, s4
	s_add_i32 s5, s4, s5
	s_mul_i32 s4, s7, s6
	s_lshl_b64 s[4:5], s[4:5], 1
	s_waitcnt lgkmcnt(0)
	s_add_u32 s11, s34, s4
	s_mul_i32 s4, s13, s12
	s_mul_i32 s4, s4, s6
	s_addc_u32 s53, s35, s5
	s_ashr_i32 s5, s4, 31
	s_mul_i32 s6, s4, s29
	s_mul_hi_u32 s7, s4, s28
	s_add_i32 s6, s7, s6
	s_mul_i32 s5, s5, s28
	s_add_i32 s5, s6, s5
	s_mul_i32 s4, s4, s28
	s_lshl_b64 s[6:7], s[4:5], 3
	s_add_u32 s54, s2, s6
	s_addc_u32 s55, s3, s7
	s_lshl_b64 s[2:3], s[4:5], 1
	s_add_u32 s56, s0, s2
	v_mov_b32_e32 v4, s10
	s_addc_u32 s57, s1, s3
	s_abs_i32 s61, s16
	v_cndmask_b32_e32 v21, v4, v0, vcc
	v_cvt_f32_u32_e32 v4, s61
	s_abs_i32 s64, s17
	v_cvt_f32_u32_e32 v5, s64
	s_sub_i32 s2, 0, s61
	v_rcp_iflag_f32_e32 v4, v4
	s_mul_i32 s0, s8, s9
	v_rcp_iflag_f32_e32 v5, v5
	v_mul_lo_u32 v3, s26, v3
	v_mul_f32_e32 v4, 0x4f7ffffe, v4
	v_cvt_u32_f32_e32 v4, v4
	v_mul_f32_e32 v5, 0x4f7ffffe, v5
	v_cvt_u32_f32_e32 v5, v5
	v_add_u32_e32 v0, s0, v2
	v_mul_lo_u32 v6, s2, v4
	v_mul_hi_u32 v6, v4, v6
	s_sub_i32 s2, 0, s64
	v_add_u32_e32 v22, v4, v6
	v_mul_lo_u32 v4, s2, v5
	s_add_i32 s2, s8, s25
	s_add_i32 s58, s14, -1
	s_add_i32 s60, s15, -1
	s_mul_i32 s2, s2, s9
	v_mul_lo_u32 v3, v3, s9
	s_mul_i32 s58, s58, s20
	s_mul_i32 s60, s60, s21
	v_ashrrev_i32_e32 v1, 31, v0
	v_mul_hi_u32 v4, v5, v4
	v_mul_lo_u32 v24, s22, v0
	s_mul_i32 s22, s25, s22
	v_add_u32_e32 v25, s2, v2
	v_lshlrev_b32_e32 v3, 2, v3
	v_lshlrev_b32_e32 v2, 2, v2
	s_not_b32 s59, s58
	v_cmp_lt_i32_e32 vcc, v20, v21
	s_not_b32 s62, s60
	v_cmp_gt_i64_e64 s[0:1], s[28:29], v[0:1]
	s_mul_i32 s63, s9, s25
	s_ashr_i32 s65, s16, 31
	s_ashr_i32 s66, s17, 31
	v_add_u32_e32 v23, v5, v4
	s_mul_i32 s22, s22, s9
	v_add3_u32 v26, v3, v2, 0
	s_lshl_b32 s25, s9, 2
	s_mov_b64 s[14:15], 0
	s_movk_i32 s67, 0x7fff
	v_mov_b32_e32 v27, 0
	v_mov_b32_e32 v28, 0x7fc0
                                        ; implicit-def: $vgpr29
                                        ; implicit-def: $vgpr30
                                        ; implicit-def: $vgpr31
                                        ; implicit-def: $vgpr32
	s_branch .LBB25_13
.LBB25_11:                              ;   in Loop: Header=BB25_13 Depth=1
	s_or_b64 exec, exec, s[20:21]
.LBB25_12:                              ;   in Loop: Header=BB25_13 Depth=1
	s_or_b64 exec, exec, s[16:17]
	v_add_u32_e32 v18, s33, v18
	v_cmp_ge_i32_e64 s[2:3], v18, v19
	s_or_b64 s[14:15], s[2:3], s[14:15]
	s_andn2_b64 exec, exec, s[14:15]
	s_cbranch_execz .LBB25_59
.LBB25_13:                              ; =>This Loop Header: Depth=1
                                        ;     Child Loop BB25_19 Depth 2
                                        ;       Child Loop BB25_28 Depth 3
                                        ;         Child Loop BB25_31 Depth 4
                                        ;           Child Loop BB25_34 Depth 5
                                        ;       Child Loop BB25_40 Depth 3
                                        ;       Child Loop BB25_51 Depth 3
	;; [unrolled: 1-line block ×3, first 2 shown]
	v_add_u32_e32 v2, s18, v18
	v_cmp_lt_i32_e64 s[2:3], s58, v2
	v_mov_b32_e32 v33, 0
	s_and_saveexec_b64 s[4:5], s[2:3]
	s_cbranch_execz .LBB25_15
; %bb.14:                               ;   in Loop: Header=BB25_13 Depth=1
	v_add_u32_e32 v3, s59, v2
	v_sub_u32_e32 v5, 0, v3
	v_ashrrev_i32_e32 v4, 31, v3
	v_max_i32_e32 v3, v3, v5
	v_mul_hi_u32 v5, v3, v22
	v_mul_lo_u32 v6, v5, s61
	v_sub_u32_e32 v3, v3, v6
	v_add_u32_e32 v6, 1, v5
	v_cmp_le_u32_e64 s[2:3], s61, v3
	v_cndmask_b32_e64 v5, v5, v6, s[2:3]
	v_subrev_u32_e32 v6, s61, v3
	v_cndmask_b32_e64 v3, v3, v6, s[2:3]
	v_add_u32_e32 v6, 1, v5
	v_cmp_le_u32_e64 s[2:3], s61, v3
	v_xor_b32_e32 v4, s65, v4
	v_cndmask_b32_e64 v3, v5, v6, s[2:3]
	v_xor_b32_e32 v3, v3, v4
	v_sub_u32_e32 v3, v3, v4
	v_add_u32_e32 v33, 1, v3
.LBB25_15:                              ;   in Loop: Header=BB25_13 Depth=1
	s_or_b64 exec, exec, s[4:5]
	s_and_saveexec_b64 s[16:17], vcc
	s_cbranch_execz .LBB25_12
; %bb.16:                               ;   in Loop: Header=BB25_13 Depth=1
	v_sub_u32_e32 v4, 0, v2
	v_ashrrev_i32_e32 v3, 31, v2
	v_max_i32_e32 v2, v2, v4
	v_mul_hi_u32 v4, v2, v22
	v_mul_lo_u32 v5, v4, s61
	v_sub_u32_e32 v2, v2, v5
	v_add_u32_e32 v5, 1, v4
	v_cmp_le_u32_e64 s[2:3], s61, v2
	v_cndmask_b32_e64 v4, v4, v5, s[2:3]
	v_subrev_u32_e32 v5, s61, v2
	v_cndmask_b32_e64 v2, v2, v5, s[2:3]
	v_add_u32_e32 v5, 1, v4
	v_cmp_le_u32_e64 s[2:3], s61, v2
	v_xor_b32_e32 v3, s65, v3
	v_cndmask_b32_e64 v2, v4, v5, s[2:3]
	v_xor_b32_e32 v2, v2, v3
	v_sub_u32_e32 v2, v2, v3
	v_add_u32_e32 v2, 1, v2
	v_min_i32_e32 v34, s12, v2
	v_sub_u32_e32 v2, v34, v33
	v_cmp_gt_i32_e64 s[8:9], 3, v2
	v_mul_lo_u32 v2, v33, s23
	v_ashrrev_i32_e32 v3, 31, v2
	v_lshlrev_b64 v[4:5], 3, v[2:3]
	v_mov_b32_e32 v6, s55
	v_add_co_u32_e64 v3, s[4:5], s54, v4
	v_add_u32_e32 v8, 1, v33
	v_addc_co_u32_e64 v36, s[4:5], v6, v5, s[4:5]
	v_add_u32_e32 v6, s23, v2
	v_cmp_eq_u32_e64 s[6:7], v8, v34
	v_ashrrev_i32_e32 v7, 31, v6
	v_mul_lo_u32 v35, v18, s10
	v_cmp_gt_i32_e64 s[2:3], v34, v33
	v_cmp_lt_i32_e64 s[4:5], v8, v34
	v_mul_lo_u32 v37, s23, v8
	s_mov_b64 s[20:21], 0
	s_xor_b64 s[26:27], s[6:7], -1
	s_xor_b64 s[30:31], s[8:9], -1
	v_lshlrev_b64 v[6:7], 3, v[6:7]
	v_mov_b32_e32 v38, v20
	s_branch .LBB25_19
.LBB25_17:                              ;   in Loop: Header=BB25_19 Depth=2
	s_or_b64 exec, exec, s[34:35]
.LBB25_18:                              ;   in Loop: Header=BB25_19 Depth=2
	s_or_b64 exec, exec, s[8:9]
	v_add_u32_e32 v38, s52, v38
	v_cmp_ge_i32_e64 s[6:7], v38, v21
	s_or_b64 s[20:21], s[6:7], s[20:21]
	s_andn2_b64 exec, exec, s[20:21]
	s_cbranch_execz .LBB25_11
.LBB25_19:                              ;   Parent Loop BB25_13 Depth=1
                                        ; =>  This Loop Header: Depth=2
                                        ;       Child Loop BB25_28 Depth 3
                                        ;         Child Loop BB25_31 Depth 4
                                        ;           Child Loop BB25_34 Depth 5
                                        ;       Child Loop BB25_40 Depth 3
                                        ;       Child Loop BB25_51 Depth 3
	;; [unrolled: 1-line block ×3, first 2 shown]
	v_add_u32_e32 v8, s19, v38
	v_cmp_lt_i32_e64 s[6:7], s60, v8
	v_mov_b32_e32 v16, 0
	s_and_saveexec_b64 s[8:9], s[6:7]
	s_cbranch_execz .LBB25_21
; %bb.20:                               ;   in Loop: Header=BB25_19 Depth=2
	v_add_u32_e32 v9, s62, v8
	v_sub_u32_e32 v11, 0, v9
	v_ashrrev_i32_e32 v10, 31, v9
	v_max_i32_e32 v9, v9, v11
	v_mul_hi_u32 v11, v9, v23
	v_mul_lo_u32 v12, v11, s64
	v_sub_u32_e32 v9, v9, v12
	v_add_u32_e32 v12, 1, v11
	v_cmp_le_u32_e64 s[6:7], s64, v9
	v_cndmask_b32_e64 v11, v11, v12, s[6:7]
	v_subrev_u32_e32 v12, s64, v9
	v_cndmask_b32_e64 v9, v9, v12, s[6:7]
	v_add_u32_e32 v12, 1, v11
	v_cmp_le_u32_e64 s[6:7], s64, v9
	v_xor_b32_e32 v10, s66, v10
	v_cndmask_b32_e64 v9, v11, v12, s[6:7]
	v_xor_b32_e32 v9, v9, v10
	v_sub_u32_e32 v9, v9, v10
	v_add_u32_e32 v16, 1, v9
.LBB25_21:                              ;   in Loop: Header=BB25_19 Depth=2
	s_or_b64 exec, exec, s[8:9]
	v_sub_u32_e32 v10, 0, v8
	v_ashrrev_i32_e32 v9, 31, v8
	v_max_i32_e32 v8, v8, v10
	v_mul_hi_u32 v10, v8, v23
	v_mul_lo_u32 v11, v10, s64
	v_sub_u32_e32 v8, v8, v11
	v_add_u32_e32 v11, 1, v10
	v_cmp_le_u32_e64 s[6:7], s64, v8
	v_cndmask_b32_e64 v10, v10, v11, s[6:7]
	v_subrev_u32_e32 v11, s64, v8
	v_cndmask_b32_e64 v8, v8, v11, s[6:7]
	v_add_u32_e32 v11, 1, v10
	v_cmp_le_u32_e64 s[6:7], s64, v8
	v_xor_b32_e32 v9, s66, v9
	v_cndmask_b32_e64 v8, v10, v11, s[6:7]
	v_xor_b32_e32 v8, v8, v9
	v_sub_u32_e32 v8, v8, v9
	v_add_u32_e32 v8, 1, v8
	v_min_i32_e32 v17, s13, v8
	v_add_u32_e32 v10, 1, v16
	v_cmp_ne_u32_e64 s[6:7], v10, v17
	v_add_u32_e32 v8, v38, v35
	s_or_b64 s[6:7], s[26:27], s[6:7]
	s_and_saveexec_b64 s[8:9], s[6:7]
	s_xor_b64 s[34:35], exec, s[8:9]
	s_cbranch_execz .LBB25_53
; %bb.22:                               ;   in Loop: Header=BB25_19 Depth=2
	v_sub_u32_e32 v9, v17, v16
	v_cmp_lt_i32_e64 s[6:7], 2, v9
	s_or_b64 s[6:7], s[30:31], s[6:7]
	s_and_saveexec_b64 s[8:9], s[6:7]
	s_xor_b64 s[36:37], exec, s[8:9]
	s_cbranch_execnz .LBB25_25
; %bb.23:                               ;   in Loop: Header=BB25_19 Depth=2
	s_andn2_saveexec_b64 s[36:37], s[36:37]
	s_cbranch_execnz .LBB25_37
.LBB25_24:                              ;   in Loop: Header=BB25_19 Depth=2
	s_or_b64 exec, exec, s[36:37]
	s_and_saveexec_b64 s[8:9], s[0:1]
	s_cbranch_execnz .LBB25_50
	s_branch .LBB25_52
.LBB25_25:                              ;   in Loop: Header=BB25_19 Depth=2
	s_and_saveexec_b64 s[38:39], s[2:3]
	s_cbranch_execz .LBB25_36
; %bb.26:                               ;   in Loop: Header=BB25_19 Depth=2
	v_mad_u64_u32 v[10:11], s[8:9], s24, v16, v[2:3]
	v_cmp_gt_i32_e64 s[6:7], v17, v16
	v_ashrrev_i32_e32 v9, 31, v8
	s_mov_b64 s[40:41], 0
	v_mov_b32_e32 v11, v33
	s_branch .LBB25_28
.LBB25_27:                              ;   in Loop: Header=BB25_28 Depth=3
	s_or_b64 exec, exec, s[42:43]
	v_add_u32_e32 v11, 1, v11
	v_cmp_ge_i32_e64 s[8:9], v11, v34
	s_or_b64 s[40:41], s[8:9], s[40:41]
	v_add_u32_e32 v10, s23, v10
	s_andn2_b64 exec, exec, s[40:41]
	s_cbranch_execz .LBB25_36
.LBB25_28:                              ;   Parent Loop BB25_13 Depth=1
                                        ;     Parent Loop BB25_19 Depth=2
                                        ; =>    This Loop Header: Depth=3
                                        ;         Child Loop BB25_31 Depth 4
                                        ;           Child Loop BB25_34 Depth 5
	s_and_saveexec_b64 s[42:43], s[6:7]
	s_cbranch_execz .LBB25_27
; %bb.29:                               ;   in Loop: Header=BB25_28 Depth=3
	v_mul_lo_u32 v12, v11, s23
	v_ashrrev_i32_e32 v13, 31, v12
	v_lshlrev_b64 v[12:13], 3, v[12:13]
	v_mov_b32_e32 v14, s55
	v_add_co_u32_e64 v39, s[8:9], s54, v12
	v_addc_co_u32_e64 v40, s[8:9], v14, v13, s[8:9]
	s_mov_b64 s[44:45], 0
	v_mov_b32_e32 v41, v10
	v_mov_b32_e32 v42, v16
	s_branch .LBB25_31
.LBB25_30:                              ;   in Loop: Header=BB25_31 Depth=4
	s_or_b64 exec, exec, s[46:47]
	v_add_u32_e32 v42, 1, v42
	v_cmp_ge_i32_e64 s[8:9], v42, v17
	s_or_b64 s[44:45], s[8:9], s[44:45]
	v_add_u32_e32 v41, s24, v41
	s_andn2_b64 exec, exec, s[44:45]
	s_cbranch_execz .LBB25_27
.LBB25_31:                              ;   Parent Loop BB25_13 Depth=1
                                        ;     Parent Loop BB25_19 Depth=2
                                        ;       Parent Loop BB25_28 Depth=3
                                        ; =>      This Loop Header: Depth=4
                                        ;           Child Loop BB25_34 Depth 5
	s_and_saveexec_b64 s[46:47], s[0:1]
	s_cbranch_execz .LBB25_30
; %bb.32:                               ;   in Loop: Header=BB25_31 Depth=4
	v_mul_lo_u32 v12, v42, s24
	v_ashrrev_i32_e32 v13, 31, v12
	v_lshlrev_b64 v[12:13], 3, v[12:13]
	v_add_co_u32_e64 v43, s[8:9], v39, v12
	v_addc_co_u32_e64 v44, s[8:9], v40, v13, s[8:9]
	s_mov_b64 s[48:49], 0
	v_mov_b32_e32 v45, v26
	v_mov_b32_e32 v12, v25
	;; [unrolled: 1-line block ×3, first 2 shown]
	s_branch .LBB25_34
.LBB25_33:                              ;   in Loop: Header=BB25_34 Depth=5
	s_or_b64 exec, exec, s[50:51]
	v_ashrrev_i32_e32 v13, 31, v12
	v_cmp_le_i64_e64 s[8:9], s[28:29], v[12:13]
	v_add_u32_e32 v14, s22, v14
	v_add_u32_e32 v12, s63, v12
	s_or_b64 s[48:49], s[8:9], s[48:49]
	v_add_u32_e32 v45, s25, v45
	s_andn2_b64 exec, exec, s[48:49]
	s_cbranch_execz .LBB25_30
.LBB25_34:                              ;   Parent Loop BB25_13 Depth=1
                                        ;     Parent Loop BB25_19 Depth=2
                                        ;       Parent Loop BB25_28 Depth=3
                                        ;         Parent Loop BB25_31 Depth=4
                                        ; =>        This Inner Loop Header: Depth=5
	v_ashrrev_i32_e32 v15, 31, v14
	v_lshlrev_b64 v[46:47], 3, v[14:15]
	v_add_co_u32_e64 v46, s[8:9], v43, v46
	v_addc_co_u32_e64 v47, s[8:9], v44, v47, s[8:9]
	global_load_dwordx2 v[46:47], v[46:47], off
	s_waitcnt vmcnt(0)
	v_cmp_eq_u64_e64 s[8:9], v[46:47], v[8:9]
	s_and_saveexec_b64 s[50:51], s[8:9]
	s_cbranch_execz .LBB25_33
; %bb.35:                               ;   in Loop: Header=BB25_34 Depth=5
	v_add_u32_e32 v46, v41, v14
	v_ashrrev_i32_e32 v47, 31, v46
	v_lshlrev_b64 v[46:47], 1, v[46:47]
	v_mov_b32_e32 v13, s57
	v_add_co_u32_e64 v46, s[8:9], s56, v46
	v_addc_co_u32_e64 v47, s[8:9], v13, v47, s[8:9]
	global_load_ushort v13, v[46:47], off
	ds_read_b32 v15, v45
	s_waitcnt vmcnt(0)
	v_lshlrev_b32_e32 v13, 16, v13
	s_waitcnt lgkmcnt(0)
	v_add_f32_e32 v13, v15, v13
	ds_write_b32 v45, v13
	s_branch .LBB25_33
.LBB25_36:                              ;   in Loop: Header=BB25_19 Depth=2
	s_or_b64 exec, exec, s[38:39]
                                        ; implicit-def: $vgpr17
                                        ; implicit-def: $vgpr16
                                        ; implicit-def: $vgpr10
	s_andn2_saveexec_b64 s[36:37], s[36:37]
	s_cbranch_execz .LBB25_24
.LBB25_37:                              ;   in Loop: Header=BB25_19 Depth=2
	s_and_saveexec_b64 s[38:39], s[0:1]
	s_cbranch_execz .LBB25_49
; %bb.38:                               ;   in Loop: Header=BB25_19 Depth=2
	v_mul_lo_u32 v12, v16, s24
	v_add_u32_e32 v14, s24, v12
	v_cmp_gt_i32_e64 s[6:7], v17, v16
	v_ashrrev_i32_e32 v13, 31, v12
	v_cmp_lt_i32_e64 s[8:9], v10, v17
	v_ashrrev_i32_e32 v15, 31, v14
	v_not_b32_e32 v9, v8
	s_and_b64 s[40:41], s[2:3], s[6:7]
	s_and_b64 s[42:43], s[2:3], s[8:9]
	;; [unrolled: 1-line block ×4, first 2 shown]
	v_add_u32_e32 v39, v37, v14
	v_add_u32_e32 v40, v37, v12
	;; [unrolled: 1-line block ×4, first 2 shown]
	s_mov_b64 s[46:47], 0
	v_lshlrev_b64 v[10:11], 3, v[12:13]
	v_lshlrev_b64 v[12:13], 3, v[14:15]
	v_mov_b32_e32 v43, v26
	v_mov_b32_e32 v14, v25
	;; [unrolled: 1-line block ×3, first 2 shown]
	s_branch .LBB25_40
.LBB25_39:                              ;   in Loop: Header=BB25_40 Depth=3
	s_or_b64 exec, exec, s[48:49]
	s_waitcnt vmcnt(0)
	v_lshlrev_b32_e32 v46, 16, v32
	v_add_f32_e32 v46, 0, v46
	v_cmp_eq_u32_e64 s[6:7], v15, v8
	v_cndmask_b32_e64 v15, 0, v46, s[6:7]
	v_lshlrev_b32_e32 v46, 16, v31
	v_add_f32_e32 v46, v15, v46
	v_cmp_eq_u32_e64 s[6:7], v17, v8
	v_cndmask_b32_e64 v15, v15, v46, s[6:7]
	;; [unrolled: 4-line block ×3, first 2 shown]
	ds_read_b32 v17, v43
	v_lshlrev_b32_e32 v44, 16, v29
	v_add_f32_e32 v44, v15, v44
	v_cmp_eq_u32_e64 s[6:7], v45, v8
	v_cndmask_b32_e64 v15, v15, v44, s[6:7]
	s_waitcnt lgkmcnt(0)
	v_add_f32_e32 v15, v15, v17
	ds_write_b32 v43, v15
	v_ashrrev_i32_e32 v15, 31, v14
	v_cmp_le_i64_e64 s[6:7], s[28:29], v[14:15]
	v_add_u32_e32 v16, s22, v16
	v_add_u32_e32 v14, s63, v14
	s_or_b64 s[46:47], s[6:7], s[46:47]
	v_add_u32_e32 v43, s25, v43
	s_andn2_b64 exec, exec, s[46:47]
	s_cbranch_execz .LBB25_48
.LBB25_40:                              ;   Parent Loop BB25_13 Depth=1
                                        ;     Parent Loop BB25_19 Depth=2
                                        ; =>    This Inner Loop Header: Depth=3
	v_ashrrev_i32_e32 v17, 31, v16
	v_lshlrev_b64 v[44:45], 3, v[16:17]
	v_mov_b32_e32 v15, s55
	v_add_co_u32_e64 v44, s[6:7], s54, v44
	v_addc_co_u32_e64 v45, s[6:7], v15, v45, s[6:7]
	v_add_co_u32_e64 v46, s[6:7], v44, v4
	v_addc_co_u32_e64 v47, s[6:7], v45, v5, s[6:7]
	v_mov_b32_e32 v15, v9
	s_and_saveexec_b64 s[48:49], s[40:41]
	s_cbranch_execz .LBB25_42
; %bb.41:                               ;   in Loop: Header=BB25_40 Depth=3
	v_add_co_u32_e64 v48, s[6:7], v46, v10
	v_addc_co_u32_e64 v49, s[6:7], v47, v11, s[6:7]
	global_load_dword v15, v[48:49], off
	v_add_u32_e32 v48, v42, v16
	v_ashrrev_i32_e32 v49, 31, v48
	v_lshlrev_b64 v[48:49], 1, v[48:49]
	v_mov_b32_e32 v17, s57
	v_add_co_u32_e64 v48, s[6:7], s56, v48
	v_addc_co_u32_e64 v49, s[6:7], v17, v49, s[6:7]
	global_load_ushort v32, v[48:49], off
.LBB25_42:                              ;   in Loop: Header=BB25_40 Depth=3
	s_or_b64 exec, exec, s[48:49]
	v_mov_b32_e32 v17, v9
	s_and_saveexec_b64 s[48:49], s[42:43]
	s_cbranch_execz .LBB25_44
; %bb.43:                               ;   in Loop: Header=BB25_40 Depth=3
	v_add_co_u32_e64 v46, s[6:7], v46, v12
	v_addc_co_u32_e64 v47, s[6:7], v47, v13, s[6:7]
	global_load_dword v17, v[46:47], off
	v_add_u32_e32 v46, v41, v16
	v_ashrrev_i32_e32 v47, 31, v46
	v_lshlrev_b64 v[46:47], 1, v[46:47]
	v_mov_b32_e32 v31, s57
	v_add_co_u32_e64 v46, s[6:7], s56, v46
	v_addc_co_u32_e64 v47, s[6:7], v31, v47, s[6:7]
	global_load_ushort v31, v[46:47], off
.LBB25_44:                              ;   in Loop: Header=BB25_40 Depth=3
	s_or_b64 exec, exec, s[48:49]
	v_add_co_u32_e64 v46, s[6:7], v44, v6
	v_addc_co_u32_e64 v47, s[6:7], v45, v7, s[6:7]
	v_mov_b32_e32 v44, v9
	s_and_saveexec_b64 s[48:49], s[44:45]
	s_cbranch_execz .LBB25_46
; %bb.45:                               ;   in Loop: Header=BB25_40 Depth=3
	v_add_u32_e32 v48, v40, v16
	v_add_co_u32_e64 v44, s[6:7], v46, v10
	v_ashrrev_i32_e32 v49, 31, v48
	v_addc_co_u32_e64 v45, s[6:7], v47, v11, s[6:7]
	v_lshlrev_b64 v[48:49], 1, v[48:49]
	v_mov_b32_e32 v30, s57
	v_add_co_u32_e64 v48, s[6:7], s56, v48
	v_addc_co_u32_e64 v49, s[6:7], v30, v49, s[6:7]
	global_load_dword v44, v[44:45], off
	s_nop 0
	global_load_ushort v30, v[48:49], off
.LBB25_46:                              ;   in Loop: Header=BB25_40 Depth=3
	s_or_b64 exec, exec, s[48:49]
	v_mov_b32_e32 v45, v9
	s_and_saveexec_b64 s[48:49], s[8:9]
	s_cbranch_execz .LBB25_39
; %bb.47:                               ;   in Loop: Header=BB25_40 Depth=3
	v_add_co_u32_e64 v46, s[6:7], v46, v12
	v_addc_co_u32_e64 v47, s[6:7], v47, v13, s[6:7]
	global_load_dword v45, v[46:47], off
	v_add_u32_e32 v46, v39, v16
	v_ashrrev_i32_e32 v47, 31, v46
	v_lshlrev_b64 v[46:47], 1, v[46:47]
	v_mov_b32_e32 v29, s57
	v_add_co_u32_e64 v46, s[6:7], s56, v46
	v_addc_co_u32_e64 v47, s[6:7], v29, v47, s[6:7]
	global_load_ushort v29, v[46:47], off
	s_branch .LBB25_39
.LBB25_48:                              ;   in Loop: Header=BB25_19 Depth=2
	s_or_b64 exec, exec, s[46:47]
.LBB25_49:                              ;   in Loop: Header=BB25_19 Depth=2
	s_or_b64 exec, exec, s[38:39]
	s_or_b64 exec, exec, s[36:37]
	s_and_saveexec_b64 s[8:9], s[0:1]
	s_cbranch_execz .LBB25_52
.LBB25_50:                              ;   in Loop: Header=BB25_19 Depth=2
	v_ashrrev_i32_e32 v9, 31, v8
	v_mul_lo_u32 v10, v8, s29
	v_mul_lo_u32 v11, v9, s28
	v_mad_u64_u32 v[8:9], s[6:7], v8, s28, 0
	v_add3_u32 v9, v9, v10, v11
	v_lshlrev_b64 v[8:9], 1, v[8:9]
	v_mov_b32_e32 v10, s53
	v_add_co_u32_e64 v12, s[6:7], s11, v8
	v_addc_co_u32_e64 v13, s[6:7], v10, v9, s[6:7]
	s_mov_b64 s[36:37], 0
	v_mov_b32_e32 v14, v26
	v_mov_b32_e32 v8, v25
	v_pk_mov_b32 v[10:11], v[0:1], v[0:1] op_sel:[0,1]
.LBB25_51:                              ;   Parent Loop BB25_13 Depth=1
                                        ;     Parent Loop BB25_19 Depth=2
                                        ; =>    This Inner Loop Header: Depth=3
	ds_read_b32 v15, v14
	v_lshlrev_b64 v[10:11], 1, v[10:11]
	v_add_co_u32_e64 v16, s[6:7], v12, v10
	v_ashrrev_i32_e32 v9, 31, v8
	v_addc_co_u32_e64 v17, s[6:7], v13, v11, s[6:7]
	v_pk_mov_b32 v[10:11], v[8:9], v[8:9] op_sel:[0,1]
	v_cmp_le_i64_e64 s[6:7], s[28:29], v[8:9]
	s_waitcnt lgkmcnt(0)
	v_bfe_u32 v9, v15, 16, 1
	v_add3_u32 v9, v15, v9, s67
	s_or_b64 s[36:37], s[6:7], s[36:37]
	v_lshrrev_b32_e32 v9, 16, v9
	v_cmp_o_f32_e64 s[6:7], v15, v15
	ds_write_b32 v14, v27
	v_add_u32_e32 v14, s25, v14
	v_add_u32_e32 v8, s63, v8
	v_cndmask_b32_e64 v9, v28, v9, s[6:7]
	global_store_short v[16:17], v9, off
	s_andn2_b64 exec, exec, s[36:37]
	s_cbranch_execnz .LBB25_51
.LBB25_52:                              ;   in Loop: Header=BB25_19 Depth=2
	s_or_b64 exec, exec, s[8:9]
                                        ; implicit-def: $vgpr16
                                        ; implicit-def: $vgpr8
.LBB25_53:                              ;   in Loop: Header=BB25_19 Depth=2
	s_andn2_saveexec_b64 s[8:9], s[34:35]
	s_cbranch_execz .LBB25_18
; %bb.54:                               ;   in Loop: Header=BB25_19 Depth=2
	s_and_saveexec_b64 s[34:35], s[0:1]
	s_cbranch_execz .LBB25_17
; %bb.55:                               ;   in Loop: Header=BB25_19 Depth=2
	v_mul_lo_u32 v10, v16, s24
	v_ashrrev_i32_e32 v11, 31, v10
	v_lshlrev_b64 v[12:13], 3, v[10:11]
	v_add_co_u32_e64 v16, s[6:7], v3, v12
	v_ashrrev_i32_e32 v9, 31, v8
	v_addc_co_u32_e64 v17, s[6:7], v36, v13, s[6:7]
	v_mul_lo_u32 v11, v8, s29
	v_mul_lo_u32 v14, v9, s28
	v_mad_u64_u32 v[12:13], s[6:7], v8, s28, 0
	v_add3_u32 v13, v13, v11, v14
	v_lshlrev_b64 v[12:13], 1, v[12:13]
	v_mov_b32_e32 v11, s53
	v_add_co_u32_e64 v39, s[6:7], s11, v12
	v_addc_co_u32_e64 v40, s[6:7], v11, v13, s[6:7]
	v_add_u32_e32 v41, v10, v2
	s_mov_b64 s[36:37], 0
	v_mov_b32_e32 v10, v25
	v_mov_b32_e32 v12, v24
	v_pk_mov_b32 v[14:15], v[0:1], v[0:1] op_sel:[0,1]
	s_branch .LBB25_57
.LBB25_56:                              ;   in Loop: Header=BB25_57 Depth=3
	s_or_b64 exec, exec, s[38:39]
	v_ashrrev_i32_e32 v11, 31, v10
	v_cmp_le_i64_e64 s[6:7], s[28:29], v[10:11]
	v_pk_mov_b32 v[14:15], v[10:11], v[10:11] op_sel:[0,1]
	v_add_u32_e32 v12, s22, v12
	s_or_b64 s[36:37], s[6:7], s[36:37]
	v_add_u32_e32 v10, s63, v10
	s_andn2_b64 exec, exec, s[36:37]
	s_cbranch_execz .LBB25_17
.LBB25_57:                              ;   Parent Loop BB25_13 Depth=1
                                        ;     Parent Loop BB25_19 Depth=2
                                        ; =>    This Inner Loop Header: Depth=3
	v_ashrrev_i32_e32 v13, 31, v12
	v_lshlrev_b64 v[42:43], 3, v[12:13]
	v_add_co_u32_e64 v42, s[6:7], v16, v42
	v_addc_co_u32_e64 v43, s[6:7], v17, v43, s[6:7]
	global_load_dwordx2 v[42:43], v[42:43], off
	s_waitcnt vmcnt(0)
	v_cmp_eq_u64_e64 s[6:7], v[42:43], v[8:9]
	s_and_saveexec_b64 s[38:39], s[6:7]
	s_cbranch_execz .LBB25_56
; %bb.58:                               ;   in Loop: Header=BB25_57 Depth=3
	v_add_u32_e32 v42, v41, v12
	v_ashrrev_i32_e32 v43, 31, v42
	v_lshlrev_b64 v[42:43], 1, v[42:43]
	v_mov_b32_e32 v11, s57
	v_add_co_u32_e64 v42, s[6:7], s56, v42
	v_addc_co_u32_e64 v43, s[6:7], v11, v43, s[6:7]
	global_load_ushort v11, v[42:43], off
	v_lshlrev_b64 v[14:15], 1, v[14:15]
	v_add_co_u32_e64 v14, s[6:7], v39, v14
	v_addc_co_u32_e64 v15, s[6:7], v40, v15, s[6:7]
	s_waitcnt vmcnt(0)
	global_store_short v[14:15], v11, off
	s_branch .LBB25_56
.LBB25_59:
	s_endpgm
.LBB25_60:
                                        ; implicit-def: $sgpr2_sgpr3
	s_andn2_b64 vcc, exec, s[34:35]
	s_cbranch_vccz .LBB25_5
	s_branch .LBB25_6
.LBB25_61:
                                        ; implicit-def: $sgpr36_sgpr37
	s_andn2_b64 vcc, exec, s[34:35]
	s_cbranch_vccz .LBB25_8
	s_branch .LBB25_9
	.section	.rodata,"a",@progbits
	.p2align	6, 0x0
	.amdhsa_kernel _ZN2at6native12_GLOBAL__N_122max_pool_backward_nhwcIN3c108BFloat16EfEEvPKT_PKlillliiiiiiiiiiiiiiiPS5_
		.amdhsa_group_segment_fixed_size 0
		.amdhsa_private_segment_fixed_size 0
		.amdhsa_kernarg_size 376
		.amdhsa_user_sgpr_count 6
		.amdhsa_user_sgpr_private_segment_buffer 1
		.amdhsa_user_sgpr_dispatch_ptr 0
		.amdhsa_user_sgpr_queue_ptr 0
		.amdhsa_user_sgpr_kernarg_segment_ptr 1
		.amdhsa_user_sgpr_dispatch_id 0
		.amdhsa_user_sgpr_flat_scratch_init 0
		.amdhsa_user_sgpr_kernarg_preload_length 0
		.amdhsa_user_sgpr_kernarg_preload_offset 0
		.amdhsa_user_sgpr_private_segment_size 0
		.amdhsa_uses_dynamic_stack 0
		.amdhsa_system_sgpr_private_segment_wavefront_offset 0
		.amdhsa_system_sgpr_workgroup_id_x 1
		.amdhsa_system_sgpr_workgroup_id_y 1
		.amdhsa_system_sgpr_workgroup_id_z 1
		.amdhsa_system_sgpr_workgroup_info 0
		.amdhsa_system_vgpr_workitem_id 2
		.amdhsa_next_free_vgpr 50
		.amdhsa_next_free_sgpr 68
		.amdhsa_accum_offset 52
		.amdhsa_reserve_vcc 1
		.amdhsa_reserve_flat_scratch 0
		.amdhsa_float_round_mode_32 0
		.amdhsa_float_round_mode_16_64 0
		.amdhsa_float_denorm_mode_32 3
		.amdhsa_float_denorm_mode_16_64 3
		.amdhsa_dx10_clamp 1
		.amdhsa_ieee_mode 1
		.amdhsa_fp16_overflow 0
		.amdhsa_tg_split 0
		.amdhsa_exception_fp_ieee_invalid_op 0
		.amdhsa_exception_fp_denorm_src 0
		.amdhsa_exception_fp_ieee_div_zero 0
		.amdhsa_exception_fp_ieee_overflow 0
		.amdhsa_exception_fp_ieee_underflow 0
		.amdhsa_exception_fp_ieee_inexact 0
		.amdhsa_exception_int_div_zero 0
	.end_amdhsa_kernel
	.section	.text._ZN2at6native12_GLOBAL__N_122max_pool_backward_nhwcIN3c108BFloat16EfEEvPKT_PKlillliiiiiiiiiiiiiiiPS5_,"axG",@progbits,_ZN2at6native12_GLOBAL__N_122max_pool_backward_nhwcIN3c108BFloat16EfEEvPKT_PKlillliiiiiiiiiiiiiiiPS5_,comdat
.Lfunc_end25:
	.size	_ZN2at6native12_GLOBAL__N_122max_pool_backward_nhwcIN3c108BFloat16EfEEvPKT_PKlillliiiiiiiiiiiiiiiPS5_, .Lfunc_end25-_ZN2at6native12_GLOBAL__N_122max_pool_backward_nhwcIN3c108BFloat16EfEEvPKT_PKlillliiiiiiiiiiiiiiiPS5_
                                        ; -- End function
	.section	.AMDGPU.csdata,"",@progbits
; Kernel info:
; codeLenInByte = 4480
; NumSgprs: 72
; NumVgprs: 50
; NumAgprs: 0
; TotalNumVgprs: 50
; ScratchSize: 0
; MemoryBound: 0
; FloatMode: 240
; IeeeMode: 1
; LDSByteSize: 0 bytes/workgroup (compile time only)
; SGPRBlocks: 8
; VGPRBlocks: 6
; NumSGPRsForWavesPerEU: 72
; NumVGPRsForWavesPerEU: 50
; AccumOffset: 52
; Occupancy: 8
; WaveLimiterHint : 0
; COMPUTE_PGM_RSRC2:SCRATCH_EN: 0
; COMPUTE_PGM_RSRC2:USER_SGPR: 6
; COMPUTE_PGM_RSRC2:TRAP_HANDLER: 0
; COMPUTE_PGM_RSRC2:TGID_X_EN: 1
; COMPUTE_PGM_RSRC2:TGID_Y_EN: 1
; COMPUTE_PGM_RSRC2:TGID_Z_EN: 1
; COMPUTE_PGM_RSRC2:TIDIG_COMP_CNT: 2
; COMPUTE_PGM_RSRC3_GFX90A:ACCUM_OFFSET: 12
; COMPUTE_PGM_RSRC3_GFX90A:TG_SPLIT: 0
	.section	.text._ZN2at6native12_GLOBAL__N_122max_pool_backward_nchwIN3c108BFloat16EfiEEvPKT_PKlT1_SA_SA_SA_SA_SA_iiiiiiiiPS5_,"axG",@progbits,_ZN2at6native12_GLOBAL__N_122max_pool_backward_nchwIN3c108BFloat16EfiEEvPKT_PKlT1_SA_SA_SA_SA_SA_iiiiiiiiPS5_,comdat
	.globl	_ZN2at6native12_GLOBAL__N_122max_pool_backward_nchwIN3c108BFloat16EfiEEvPKT_PKlT1_SA_SA_SA_SA_SA_iiiiiiiiPS5_ ; -- Begin function _ZN2at6native12_GLOBAL__N_122max_pool_backward_nchwIN3c108BFloat16EfiEEvPKT_PKlT1_SA_SA_SA_SA_SA_iiiiiiiiPS5_
	.p2align	8
	.type	_ZN2at6native12_GLOBAL__N_122max_pool_backward_nchwIN3c108BFloat16EfiEEvPKT_PKlT1_SA_SA_SA_SA_SA_iiiiiiiiPS5_,@function
_ZN2at6native12_GLOBAL__N_122max_pool_backward_nchwIN3c108BFloat16EfiEEvPKT_PKlT1_SA_SA_SA_SA_SA_iiiiiiiiPS5_: ; @_ZN2at6native12_GLOBAL__N_122max_pool_backward_nchwIN3c108BFloat16EfiEEvPKT_PKlT1_SA_SA_SA_SA_SA_iiiiiiiiPS5_
; %bb.0:
	s_load_dword s0, s[4:5], 0x5c
	s_load_dwordx8 s[12:19], s[4:5], 0x10
	s_add_u32 s10, s4, 0x50
	s_addc_u32 s11, s5, 0
	v_mov_b32_e32 v1, 0
	s_waitcnt lgkmcnt(0)
	s_and_b32 s0, s0, 0xffff
	v_mov_b32_e32 v2, s6
	s_mul_i32 s28, s15, s14
	v_mad_u64_u32 v[0:1], s[2:3], s0, v2, v[0:1]
	s_ashr_i32 s29, s28, 31
	v_cmp_gt_i64_e32 vcc, s[28:29], v[0:1]
	s_and_saveexec_b64 s[2:3], vcc
	s_cbranch_execz .LBB26_23
; %bb.1:
	s_load_dwordx8 s[20:27], s[4:5], 0x30
	s_load_dword s1, s[10:11], 0x0
	s_add_i32 s6, s18, -1
	s_add_i32 s9, s19, -1
	s_mul_i32 s53, s17, s16
	s_waitcnt lgkmcnt(0)
	s_mul_i32 s6, s6, s24
	s_mul_i32 s9, s9, s25
	s_not_b32 s14, s6
	s_not_b32 s33, s9
	s_cmp_lt_i32 s7, s12
	s_cselect_b64 s[2:3], -1, 0
	s_cmp_lt_i32 s8, s13
	s_cselect_b64 s[18:19], -1, 0
	s_abs_i32 s44, s15
	v_cvt_f32_u32_e32 v2, s44
	s_abs_i32 s48, s20
	v_cvt_f32_u32_e32 v3, s48
	s_mul_i32 s45, s1, s0
	v_rcp_iflag_f32_e32 v2, v2
	s_sub_i32 s0, 0, s44
	s_abs_i32 s49, s21
	v_rcp_iflag_f32_e32 v5, v3
	v_mul_f32_e32 v2, 0x4f7ffffe, v2
	v_cvt_u32_f32_e32 v2, v2
	s_load_dwordx4 s[24:27], s[4:5], 0x0
	s_load_dwordx2 s[30:31], s[4:5], 0x48
	s_mov_b32 s46, 0
	s_ashr_i32 s47, s15, 31
	v_mul_lo_u32 v4, s0, v2
	v_mul_hi_u32 v4, v2, v4
	v_add_u32_e32 v3, v2, v4
	v_cvt_f32_u32_e32 v2, s49
	v_mul_f32_e32 v4, 0x4f7ffffe, v5
	v_cvt_u32_f32_e32 v4, v4
	s_sub_i32 s0, 0, s48
	v_rcp_iflag_f32_e32 v2, v2
	s_ashr_i32 s50, s20, 31
	v_mul_lo_u32 v5, s0, v4
	v_mul_hi_u32 v5, v4, v5
	v_mul_f32_e32 v2, 0x4f7ffffe, v2
	v_cvt_u32_f32_e32 v2, v2
	s_sub_i32 s0, 0, s49
	v_add_u32_e32 v10, v4, v5
	s_ashr_i32 s51, s21, 31
	v_mul_lo_u32 v4, s0, v2
	v_mul_hi_u32 v4, v2, v4
	s_mul_i32 s0, s7, s13
	v_add_u32_e32 v11, v2, v4
	s_add_i32 s0, s8, s0
	v_cndmask_b32_e64 v2, 0, 1, s[2:3]
	s_mul_i32 s52, s16, s0
	s_mul_i32 s54, s53, s13
	s_mov_b64 s[20:21], 0
	s_movk_i32 s55, 0x7fff
	v_cmp_ne_u32_e64 s[0:1], 1, v2
	v_mov_b32_e32 v12, 0x7fc0
	s_branch .LBB26_3
.LBB26_2:                               ;   in Loop: Header=BB26_3 Depth=1
	v_mov_b32_e32 v2, s46
	v_add_co_u32_e32 v0, vcc, s45, v0
	v_addc_co_u32_e32 v1, vcc, v1, v2, vcc
	v_cmp_le_i64_e32 vcc, s[28:29], v[0:1]
	s_or_b64 s[20:21], vcc, s[20:21]
	s_andn2_b64 exec, exec, s[20:21]
	s_cbranch_execz .LBB26_23
.LBB26_3:                               ; =>This Loop Header: Depth=1
                                        ;     Child Loop BB26_10 Depth 2
                                        ;       Child Loop BB26_14 Depth 3
                                        ;         Child Loop BB26_18 Depth 4
                                        ;           Child Loop BB26_21 Depth 5
	v_sub_u32_e32 v4, 0, v0
	v_max_i32_e32 v4, v0, v4
	v_mul_hi_u32 v5, v4, v3
	v_mul_lo_u32 v6, v5, s44
	v_sub_u32_e32 v4, v4, v6
	v_add_u32_e32 v6, 1, v5
	v_cmp_le_u32_e32 vcc, s44, v4
	v_cndmask_b32_e32 v5, v5, v6, vcc
	v_subrev_u32_e32 v6, s44, v4
	v_cndmask_b32_e32 v4, v4, v6, vcc
	v_ashrrev_i32_e32 v2, 31, v0
	v_add_u32_e32 v6, 1, v5
	v_cmp_le_u32_e32 vcc, s44, v4
	v_xor_b32_e32 v2, s47, v2
	v_cndmask_b32_e32 v4, v5, v6, vcc
	v_xor_b32_e32 v4, v4, v2
	v_sub_u32_e32 v5, v4, v2
	v_add_u32_e32 v4, s22, v5
	v_cmp_lt_i32_e32 vcc, s6, v4
	v_mov_b32_e32 v2, 0
	v_mov_b32_e32 v13, 0
	s_and_saveexec_b64 s[2:3], vcc
	s_cbranch_execz .LBB26_5
; %bb.4:                                ;   in Loop: Header=BB26_3 Depth=1
	v_add_u32_e32 v6, s14, v4
	v_sub_u32_e32 v8, 0, v6
	v_ashrrev_i32_e32 v7, 31, v6
	v_max_i32_e32 v6, v6, v8
	v_mul_hi_u32 v8, v6, v10
	v_mul_lo_u32 v9, v8, s48
	v_sub_u32_e32 v6, v6, v9
	v_add_u32_e32 v9, 1, v8
	v_cmp_le_u32_e32 vcc, s48, v6
	v_cndmask_b32_e32 v8, v8, v9, vcc
	v_subrev_u32_e32 v9, s48, v6
	v_cndmask_b32_e32 v6, v6, v9, vcc
	v_add_u32_e32 v9, 1, v8
	v_cmp_le_u32_e32 vcc, s48, v6
	v_xor_b32_e32 v7, s50, v7
	v_cndmask_b32_e32 v6, v8, v9, vcc
	v_xor_b32_e32 v6, v6, v7
	v_sub_u32_e32 v6, v6, v7
	v_add_u32_e32 v13, 1, v6
.LBB26_5:                               ;   in Loop: Header=BB26_3 Depth=1
	s_or_b64 exec, exec, s[2:3]
	v_mul_lo_u32 v5, v5, s15
	v_sub_u32_e32 v5, v0, v5
	v_add_u32_e32 v5, s23, v5
	v_cmp_lt_i32_e32 vcc, s9, v5
	s_and_saveexec_b64 s[2:3], vcc
	s_cbranch_execz .LBB26_7
; %bb.6:                                ;   in Loop: Header=BB26_3 Depth=1
	v_add_u32_e32 v2, s33, v5
	v_sub_u32_e32 v7, 0, v2
	v_ashrrev_i32_e32 v6, 31, v2
	v_max_i32_e32 v2, v2, v7
	v_mul_hi_u32 v7, v2, v11
	v_mul_lo_u32 v8, v7, s49
	v_sub_u32_e32 v2, v2, v8
	v_add_u32_e32 v8, 1, v7
	v_cmp_le_u32_e32 vcc, s49, v2
	v_cndmask_b32_e32 v7, v7, v8, vcc
	v_subrev_u32_e32 v8, s49, v2
	v_cndmask_b32_e32 v2, v2, v8, vcc
	v_add_u32_e32 v8, 1, v7
	v_cmp_le_u32_e32 vcc, s49, v2
	v_xor_b32_e32 v6, s51, v6
	v_cndmask_b32_e32 v2, v7, v8, vcc
	v_xor_b32_e32 v2, v2, v6
	v_sub_u32_e32 v2, v2, v6
	v_add_u32_e32 v2, 1, v2
.LBB26_7:                               ;   in Loop: Header=BB26_3 Depth=1
	s_or_b64 exec, exec, s[2:3]
	s_and_b64 vcc, exec, s[0:1]
	s_cbranch_vccnz .LBB26_2
; %bb.8:                                ;   in Loop: Header=BB26_3 Depth=1
	v_sub_u32_e32 v7, 0, v5
	v_ashrrev_i32_e32 v6, 31, v5
	v_max_i32_e32 v5, v5, v7
	v_mul_hi_u32 v7, v5, v11
	v_mul_lo_u32 v8, v7, s49
	v_sub_u32_e32 v5, v5, v8
	v_add_u32_e32 v8, 1, v7
	v_cmp_le_u32_e32 vcc, s49, v5
	v_cndmask_b32_e32 v7, v7, v8, vcc
	v_subrev_u32_e32 v8, s49, v5
	v_cndmask_b32_e32 v5, v5, v8, vcc
	v_add_u32_e32 v8, 1, v7
	v_cmp_le_u32_e32 vcc, s49, v5
	v_xor_b32_e32 v6, s51, v6
	v_cndmask_b32_e32 v5, v7, v8, vcc
	v_xor_b32_e32 v5, v5, v6
	v_sub_u32_e32 v5, v5, v6
	v_add_u32_e32 v5, 1, v5
	v_sub_u32_e32 v6, 0, v4
	v_min_i32_e32 v14, s17, v5
	v_ashrrev_i32_e32 v5, 31, v4
	v_max_i32_e32 v4, v4, v6
	v_mul_hi_u32 v6, v4, v10
	v_mul_lo_u32 v7, v6, s48
	v_sub_u32_e32 v4, v4, v7
	v_add_u32_e32 v7, 1, v6
	v_cmp_le_u32_e32 vcc, s48, v4
	v_cndmask_b32_e32 v6, v6, v7, vcc
	v_subrev_u32_e32 v7, s48, v4
	v_cndmask_b32_e32 v4, v4, v7, vcc
	v_add_u32_e32 v7, 1, v6
	v_cmp_le_u32_e32 vcc, s48, v4
	v_xor_b32_e32 v5, s50, v5
	v_cndmask_b32_e32 v4, v6, v7, vcc
	s_load_dword s56, s[10:11], 0x4
	v_xor_b32_e32 v4, v4, v5
	v_sub_u32_e32 v4, v4, v5
	v_add_u32_e32 v4, 1, v4
	v_min_i32_e32 v15, s16, v4
	v_add_u32_e32 v6, s52, v13
	v_cmp_lt_i32_e64 s[2:3], v13, v15
	v_cmp_lt_i32_e64 s[4:5], v2, v14
	v_ashrrev_i32_e32 v5, 31, v0
	v_mov_b32_e32 v4, v0
	v_mad_u64_u32 v[6:7], s[34:35], s17, v6, v[2:3]
	s_waitcnt lgkmcnt(0)
	s_mul_i32 s57, s54, s56
	s_mov_b32 s58, s7
	s_branch .LBB26_10
.LBB26_9:                               ;   in Loop: Header=BB26_10 Depth=2
	s_add_i32 s58, s56, s58
	s_cmp_ge_i32 s58, s12
	v_add_u32_e32 v6, s57, v6
	s_cbranch_scc1 .LBB26_2
.LBB26_10:                              ;   Parent Loop BB26_3 Depth=1
                                        ; =>  This Loop Header: Depth=2
                                        ;       Child Loop BB26_14 Depth 3
                                        ;         Child Loop BB26_18 Depth 4
                                        ;           Child Loop BB26_21 Depth 5
	s_andn2_b64 vcc, exec, s[18:19]
	s_cbranch_vccnz .LBB26_9
; %bb.11:                               ;   in Loop: Header=BB26_10 Depth=2
	s_load_dword s59, s[10:11], 0x8
	s_mul_i32 s60, s58, s13
	v_mov_b32_e32 v7, v6
	s_mov_b32 s62, s8
	s_waitcnt lgkmcnt(0)
	s_mul_i32 s61, s53, s59
	s_branch .LBB26_14
.LBB26_12:                              ;   in Loop: Header=BB26_14 Depth=3
	s_or_b64 exec, exec, s[36:37]
.LBB26_13:                              ;   in Loop: Header=BB26_14 Depth=3
	s_or_b64 exec, exec, s[34:35]
	v_bfe_u32 v8, v16, 16, 1
	s_add_i32 s34, s62, s60
	v_add3_u32 v8, v16, v8, s55
	v_lshrrev_b32_e32 v8, 16, v8
	v_cmp_o_f32_e32 vcc, v16, v16
	s_mul_i32 s34, s28, s34
	v_cndmask_b32_e32 v16, v12, v8, vcc
	v_add_u32_e32 v8, s34, v0
	v_ashrrev_i32_e32 v9, 31, v8
	v_lshlrev_b64 v[8:9], 1, v[8:9]
	v_mov_b32_e32 v17, s31
	v_add_co_u32_e32 v8, vcc, s30, v8
	s_add_i32 s62, s59, s62
	v_addc_co_u32_e32 v9, vcc, v17, v9, vcc
	s_cmp_ge_i32 s62, s13
	v_add_u32_e32 v7, s61, v7
	global_store_short v[8:9], v16, off
	s_cbranch_scc1 .LBB26_9
.LBB26_14:                              ;   Parent Loop BB26_3 Depth=1
                                        ;     Parent Loop BB26_10 Depth=2
                                        ; =>    This Loop Header: Depth=3
                                        ;         Child Loop BB26_18 Depth 4
                                        ;           Child Loop BB26_21 Depth 5
	v_mov_b32_e32 v16, 0
	s_and_saveexec_b64 s[34:35], s[2:3]
	s_cbranch_execz .LBB26_13
; %bb.15:                               ;   in Loop: Header=BB26_14 Depth=3
	s_mov_b64 s[36:37], 0
	v_mov_b32_e32 v16, 0
	v_mov_b32_e32 v17, v7
	;; [unrolled: 1-line block ×3, first 2 shown]
	s_branch .LBB26_18
.LBB26_16:                              ;   in Loop: Header=BB26_18 Depth=4
	s_or_b64 exec, exec, s[40:41]
.LBB26_17:                              ;   in Loop: Header=BB26_18 Depth=4
	s_or_b64 exec, exec, s[38:39]
	v_add_u32_e32 v18, 1, v18
	v_cmp_ge_i32_e32 vcc, v18, v15
	s_or_b64 s[36:37], vcc, s[36:37]
	v_add_u32_e32 v17, s17, v17
	s_andn2_b64 exec, exec, s[36:37]
	s_cbranch_execz .LBB26_12
.LBB26_18:                              ;   Parent Loop BB26_3 Depth=1
                                        ;     Parent Loop BB26_10 Depth=2
                                        ;       Parent Loop BB26_14 Depth=3
                                        ; =>      This Loop Header: Depth=4
                                        ;           Child Loop BB26_21 Depth 5
	s_and_saveexec_b64 s[38:39], s[4:5]
	s_cbranch_execz .LBB26_17
; %bb.19:                               ;   in Loop: Header=BB26_18 Depth=4
	s_mov_b64 s[40:41], 0
	v_mov_b32_e32 v8, v17
	v_mov_b32_e32 v19, v2
	s_branch .LBB26_21
.LBB26_20:                              ;   in Loop: Header=BB26_21 Depth=5
	s_or_b64 exec, exec, s[42:43]
	v_add_u32_e32 v19, 1, v19
	v_cmp_ge_i32_e32 vcc, v19, v14
	s_or_b64 s[40:41], vcc, s[40:41]
	v_add_u32_e32 v8, 1, v8
	s_andn2_b64 exec, exec, s[40:41]
	s_cbranch_execz .LBB26_16
.LBB26_21:                              ;   Parent Loop BB26_3 Depth=1
                                        ;     Parent Loop BB26_10 Depth=2
                                        ;       Parent Loop BB26_14 Depth=3
                                        ;         Parent Loop BB26_18 Depth=4
                                        ; =>        This Inner Loop Header: Depth=5
	v_ashrrev_i32_e32 v9, 31, v8
	v_lshlrev_b64 v[20:21], 3, v[8:9]
	v_mov_b32_e32 v22, s27
	v_add_co_u32_e32 v20, vcc, s26, v20
	v_addc_co_u32_e32 v21, vcc, v22, v21, vcc
	global_load_dwordx2 v[20:21], v[20:21], off
	s_waitcnt vmcnt(0)
	v_cmp_eq_u64_e32 vcc, v[20:21], v[4:5]
	s_and_saveexec_b64 s[42:43], vcc
	s_cbranch_execz .LBB26_20
; %bb.22:                               ;   in Loop: Header=BB26_21 Depth=5
	v_lshlrev_b64 v[20:21], 1, v[8:9]
	v_mov_b32_e32 v9, s25
	v_add_co_u32_e32 v20, vcc, s24, v20
	v_addc_co_u32_e32 v21, vcc, v9, v21, vcc
	global_load_ushort v9, v[20:21], off
	s_waitcnt vmcnt(0)
	v_lshlrev_b32_e32 v9, 16, v9
	v_add_f32_e32 v16, v16, v9
	s_branch .LBB26_20
.LBB26_23:
	s_endpgm
	.section	.rodata,"a",@progbits
	.p2align	6, 0x0
	.amdhsa_kernel _ZN2at6native12_GLOBAL__N_122max_pool_backward_nchwIN3c108BFloat16EfiEEvPKT_PKlT1_SA_SA_SA_SA_SA_iiiiiiiiPS5_
		.amdhsa_group_segment_fixed_size 0
		.amdhsa_private_segment_fixed_size 0
		.amdhsa_kernarg_size 336
		.amdhsa_user_sgpr_count 6
		.amdhsa_user_sgpr_private_segment_buffer 1
		.amdhsa_user_sgpr_dispatch_ptr 0
		.amdhsa_user_sgpr_queue_ptr 0
		.amdhsa_user_sgpr_kernarg_segment_ptr 1
		.amdhsa_user_sgpr_dispatch_id 0
		.amdhsa_user_sgpr_flat_scratch_init 0
		.amdhsa_user_sgpr_kernarg_preload_length 0
		.amdhsa_user_sgpr_kernarg_preload_offset 0
		.amdhsa_user_sgpr_private_segment_size 0
		.amdhsa_uses_dynamic_stack 0
		.amdhsa_system_sgpr_private_segment_wavefront_offset 0
		.amdhsa_system_sgpr_workgroup_id_x 1
		.amdhsa_system_sgpr_workgroup_id_y 1
		.amdhsa_system_sgpr_workgroup_id_z 1
		.amdhsa_system_sgpr_workgroup_info 0
		.amdhsa_system_vgpr_workitem_id 0
		.amdhsa_next_free_vgpr 23
		.amdhsa_next_free_sgpr 63
		.amdhsa_accum_offset 24
		.amdhsa_reserve_vcc 1
		.amdhsa_reserve_flat_scratch 0
		.amdhsa_float_round_mode_32 0
		.amdhsa_float_round_mode_16_64 0
		.amdhsa_float_denorm_mode_32 3
		.amdhsa_float_denorm_mode_16_64 3
		.amdhsa_dx10_clamp 1
		.amdhsa_ieee_mode 1
		.amdhsa_fp16_overflow 0
		.amdhsa_tg_split 0
		.amdhsa_exception_fp_ieee_invalid_op 0
		.amdhsa_exception_fp_denorm_src 0
		.amdhsa_exception_fp_ieee_div_zero 0
		.amdhsa_exception_fp_ieee_overflow 0
		.amdhsa_exception_fp_ieee_underflow 0
		.amdhsa_exception_fp_ieee_inexact 0
		.amdhsa_exception_int_div_zero 0
	.end_amdhsa_kernel
	.section	.text._ZN2at6native12_GLOBAL__N_122max_pool_backward_nchwIN3c108BFloat16EfiEEvPKT_PKlT1_SA_SA_SA_SA_SA_iiiiiiiiPS5_,"axG",@progbits,_ZN2at6native12_GLOBAL__N_122max_pool_backward_nchwIN3c108BFloat16EfiEEvPKT_PKlT1_SA_SA_SA_SA_SA_iiiiiiiiPS5_,comdat
.Lfunc_end26:
	.size	_ZN2at6native12_GLOBAL__N_122max_pool_backward_nchwIN3c108BFloat16EfiEEvPKT_PKlT1_SA_SA_SA_SA_SA_iiiiiiiiPS5_, .Lfunc_end26-_ZN2at6native12_GLOBAL__N_122max_pool_backward_nchwIN3c108BFloat16EfiEEvPKT_PKlT1_SA_SA_SA_SA_SA_iiiiiiiiPS5_
                                        ; -- End function
	.section	.AMDGPU.csdata,"",@progbits
; Kernel info:
; codeLenInByte = 1304
; NumSgprs: 67
; NumVgprs: 23
; NumAgprs: 0
; TotalNumVgprs: 23
; ScratchSize: 0
; MemoryBound: 0
; FloatMode: 240
; IeeeMode: 1
; LDSByteSize: 0 bytes/workgroup (compile time only)
; SGPRBlocks: 8
; VGPRBlocks: 2
; NumSGPRsForWavesPerEU: 67
; NumVGPRsForWavesPerEU: 23
; AccumOffset: 24
; Occupancy: 8
; WaveLimiterHint : 0
; COMPUTE_PGM_RSRC2:SCRATCH_EN: 0
; COMPUTE_PGM_RSRC2:USER_SGPR: 6
; COMPUTE_PGM_RSRC2:TRAP_HANDLER: 0
; COMPUTE_PGM_RSRC2:TGID_X_EN: 1
; COMPUTE_PGM_RSRC2:TGID_Y_EN: 1
; COMPUTE_PGM_RSRC2:TGID_Z_EN: 1
; COMPUTE_PGM_RSRC2:TIDIG_COMP_CNT: 0
; COMPUTE_PGM_RSRC3_GFX90A:ACCUM_OFFSET: 5
; COMPUTE_PGM_RSRC3_GFX90A:TG_SPLIT: 0
	.section	.text._ZN2at6native12_GLOBAL__N_122max_pool_backward_nchwIN3c108BFloat16EflEEvPKT_PKlT1_SA_SA_SA_SA_SA_iiiiiiiiPS5_,"axG",@progbits,_ZN2at6native12_GLOBAL__N_122max_pool_backward_nchwIN3c108BFloat16EflEEvPKT_PKlT1_SA_SA_SA_SA_SA_iiiiiiiiPS5_,comdat
	.globl	_ZN2at6native12_GLOBAL__N_122max_pool_backward_nchwIN3c108BFloat16EflEEvPKT_PKlT1_SA_SA_SA_SA_SA_iiiiiiiiPS5_ ; -- Begin function _ZN2at6native12_GLOBAL__N_122max_pool_backward_nchwIN3c108BFloat16EflEEvPKT_PKlT1_SA_SA_SA_SA_SA_iiiiiiiiPS5_
	.p2align	8
	.type	_ZN2at6native12_GLOBAL__N_122max_pool_backward_nchwIN3c108BFloat16EflEEvPKT_PKlT1_SA_SA_SA_SA_SA_iiiiiiiiPS5_,@function
_ZN2at6native12_GLOBAL__N_122max_pool_backward_nchwIN3c108BFloat16EflEEvPKT_PKlT1_SA_SA_SA_SA_SA_iiiiiiiiPS5_: ; @_ZN2at6native12_GLOBAL__N_122max_pool_backward_nchwIN3c108BFloat16EflEEvPKT_PKlT1_SA_SA_SA_SA_SA_iiiiiiiiPS5_
; %bb.0:
	s_load_dword s0, s[4:5], 0x74
	s_load_dwordx16 s[12:27], s[4:5], 0x0
	s_add_u32 s28, s4, 0x68
	v_mov_b32_e32 v2, 0
	s_mov_b32 s10, s7
	s_addc_u32 s29, s5, 0
	s_waitcnt lgkmcnt(0)
	s_and_b32 s7, s0, 0xffff
	v_mov_b32_e32 v1, v2
	v_mov_b32_e32 v3, s6
	v_mad_u64_u32 v[0:1], s[0:1], s7, v3, v[0:1]
	s_mul_i32 s0, s22, s21
	s_mul_hi_u32 s1, s22, s20
	s_add_i32 s0, s1, s0
	s_mul_i32 s1, s23, s20
	s_add_i32 s21, s0, s1
	s_mul_i32 s20, s22, s20
	v_cmp_gt_i64_e32 vcc, s[20:21], v[0:1]
	s_and_saveexec_b64 s[0:1], vcc
	s_cbranch_execz .LBB27_43
; %bb.1:
	s_load_dwordx8 s[36:43], s[4:5], 0x40
	s_load_dwordx2 s[30:31], s[4:5], 0x60
	s_load_dword s6, s[28:29], 0x0
	s_mul_i32 s4, s19, s10
	s_mul_hi_u32 s5, s18, s10
	s_waitcnt lgkmcnt(0)
	s_add_i32 s0, s36, -1
	s_mul_i32 s0, s0, s42
	s_add_i32 s34, s0, 1
	s_add_i32 s0, s37, -1
	s_mul_i32 s0, s0, s43
	s_add_i32 s36, s0, 1
	v_cvt_f32_u32_e32 v3, s22
	s_ashr_i32 s52, s40, 31
	s_ashr_i32 s35, s34, 31
	;; [unrolled: 1-line block ×6, first 2 shown]
	s_add_i32 s5, s5, s4
	s_mul_i32 s4, s18, s10
	s_add_u32 s4, s4, s8
	s_addc_u32 s5, s5, 0
	s_mul_i32 s72, s6, s7
	s_mul_i32 s5, s24, s5
	s_mul_hi_u32 s6, s24, s4
	v_rcp_iflag_f32_e32 v3, v3
	s_add_i32 s5, s6, s5
	s_mul_i32 s6, s25, s4
	s_add_i32 s74, s5, s6
	s_mul_i32 s75, s24, s4
	s_mul_i32 s4, s26, s25
	s_mul_hi_u32 s5, s26, s24
	s_add_i32 s4, s5, s4
	s_mul_i32 s5, s27, s24
	s_add_i32 s5, s4, s5
	s_mul_i32 s4, s26, s24
	v_mul_f32_e32 v3, 0x4f7ffffe, v3
	s_mul_i32 s6, s4, s19
	s_mul_hi_u32 s7, s4, s18
	v_cvt_u32_f32_e32 v32, v3
	s_mov_b32 s11, 0
	v_pk_mov_b32 v[4:5], s[16:17], s[16:17] op_sel:[0,1]
	s_add_i32 s6, s7, s6
	s_mul_i32 s7, s5, s18
	v_cmp_lt_i64_e64 s[0:1], s[10:11], v[4:5]
	s_mov_b32 s9, s11
	v_pk_mov_b32 v[4:5], s[18:19], s[18:19] op_sel:[0,1]
	s_add_i32 s7, s6, s7
	s_mul_i32 s6, s4, s18
	s_mov_b32 s33, s40
	s_mov_b32 s67, s38
	;; [unrolled: 1-line block ×4, first 2 shown]
	v_cmp_lt_i64_e64 s[2:3], s[8:9], v[4:5]
	s_mov_b32 s73, s11
	s_lshl_b64 s[38:39], s[6:7], 3
	s_lshl_b64 s[40:41], s[4:5], 3
	;; [unrolled: 1-line block ×6, first 2 shown]
	s_mov_b64 s[50:51], 0
	s_movk_i32 s76, 0x7fff
	v_mov_b32_e32 v33, s52
	v_mov_b32_e32 v34, 0x7fc0
	s_branch .LBB27_3
.LBB27_2:                               ;   in Loop: Header=BB27_3 Depth=1
	v_mov_b32_e32 v3, s73
	v_add_co_u32_e32 v0, vcc, s72, v0
	v_addc_co_u32_e32 v1, vcc, v1, v3, vcc
	v_cmp_le_i64_e32 vcc, s[20:21], v[0:1]
	s_or_b64 s[50:51], vcc, s[50:51]
	s_andn2_b64 exec, exec, s[50:51]
	s_cbranch_execz .LBB27_43
.LBB27_3:                               ; =>This Loop Header: Depth=1
                                        ;     Child Loop BB27_30 Depth 2
                                        ;       Child Loop BB27_34 Depth 3
                                        ;         Child Loop BB27_38 Depth 4
                                        ;           Child Loop BB27_41 Depth 5
	v_or_b32_e32 v3, s23, v1
	v_cmp_ne_u64_e32 vcc, 0, v[2:3]
                                        ; implicit-def: $vgpr6_vgpr7
	s_and_saveexec_b64 s[4:5], vcc
	s_xor_b64 s[6:7], exec, s[4:5]
	s_cbranch_execz .LBB27_5
; %bb.4:                                ;   in Loop: Header=BB27_3 Depth=1
	s_ashr_i32 s52, s23, 31
	s_add_u32 s4, s22, s52
	s_mov_b32 s53, s52
	s_addc_u32 s5, s23, s52
	s_xor_b64 s[54:55], s[4:5], s[52:53]
	v_cvt_f32_u32_e32 v3, s54
	v_cvt_f32_u32_e32 v4, s55
	s_sub_u32 s4, 0, s54
	s_subb_u32 s5, 0, s55
	v_mac_f32_e32 v3, 0x4f800000, v4
	v_rcp_f32_e32 v3, v3
	v_mul_f32_e32 v3, 0x5f7ffffc, v3
	v_mul_f32_e32 v4, 0x2f800000, v3
	v_trunc_f32_e32 v4, v4
	v_mac_f32_e32 v3, 0xcf800000, v4
	v_cvt_u32_f32_e32 v4, v4
	v_cvt_u32_f32_e32 v3, v3
	v_mul_lo_u32 v5, s4, v4
	v_mul_hi_u32 v7, s4, v3
	v_mul_lo_u32 v6, s5, v3
	v_add_u32_e32 v5, v7, v5
	v_mul_lo_u32 v8, s4, v3
	v_add_u32_e32 v5, v5, v6
	v_mul_lo_u32 v7, v3, v5
	v_mul_hi_u32 v9, v3, v8
	v_mul_hi_u32 v6, v3, v5
	v_add_co_u32_e32 v7, vcc, v9, v7
	v_addc_co_u32_e32 v6, vcc, 0, v6, vcc
	v_mul_hi_u32 v10, v4, v8
	v_mul_lo_u32 v8, v4, v8
	v_add_co_u32_e32 v7, vcc, v7, v8
	v_mul_hi_u32 v9, v4, v5
	v_addc_co_u32_e32 v6, vcc, v6, v10, vcc
	v_addc_co_u32_e32 v7, vcc, 0, v9, vcc
	v_mul_lo_u32 v5, v4, v5
	v_add_co_u32_e32 v5, vcc, v6, v5
	v_addc_co_u32_e32 v6, vcc, 0, v7, vcc
	v_add_co_u32_e32 v3, vcc, v3, v5
	v_addc_co_u32_e32 v4, vcc, v4, v6, vcc
	v_mul_lo_u32 v5, s4, v4
	v_mul_hi_u32 v6, s4, v3
	v_add_u32_e32 v5, v6, v5
	v_mul_lo_u32 v6, s5, v3
	v_add_u32_e32 v5, v5, v6
	v_mul_lo_u32 v7, s4, v3
	v_mul_hi_u32 v8, v4, v7
	v_mul_lo_u32 v9, v4, v7
	v_mul_lo_u32 v11, v3, v5
	v_mul_hi_u32 v7, v3, v7
	v_mul_hi_u32 v10, v3, v5
	v_add_co_u32_e32 v7, vcc, v7, v11
	v_addc_co_u32_e32 v10, vcc, 0, v10, vcc
	v_add_co_u32_e32 v7, vcc, v7, v9
	v_mul_hi_u32 v6, v4, v5
	v_addc_co_u32_e32 v7, vcc, v10, v8, vcc
	v_addc_co_u32_e32 v6, vcc, 0, v6, vcc
	v_mul_lo_u32 v5, v4, v5
	v_add_co_u32_e32 v5, vcc, v7, v5
	v_addc_co_u32_e32 v6, vcc, 0, v6, vcc
	v_add_co_u32_e32 v3, vcc, v3, v5
	v_addc_co_u32_e32 v6, vcc, v4, v6, vcc
	v_ashrrev_i32_e32 v8, 31, v1
	v_add_co_u32_e32 v4, vcc, v0, v8
	v_addc_co_u32_e32 v5, vcc, v1, v8, vcc
	v_xor_b32_e32 v10, v4, v8
	v_xor_b32_e32 v9, v5, v8
	v_mad_u64_u32 v[4:5], s[4:5], v10, v6, 0
	v_mul_hi_u32 v7, v10, v3
	v_add_co_u32_e32 v11, vcc, v7, v4
	v_addc_co_u32_e32 v12, vcc, 0, v5, vcc
	v_mad_u64_u32 v[4:5], s[4:5], v9, v6, 0
	v_mad_u64_u32 v[6:7], s[4:5], v9, v3, 0
	v_add_co_u32_e32 v3, vcc, v11, v6
	v_addc_co_u32_e32 v3, vcc, v12, v7, vcc
	v_addc_co_u32_e32 v5, vcc, 0, v5, vcc
	v_add_co_u32_e32 v3, vcc, v3, v4
	v_addc_co_u32_e32 v6, vcc, 0, v5, vcc
	v_mul_lo_u32 v7, s55, v3
	v_mul_lo_u32 v11, s54, v6
	v_mad_u64_u32 v[4:5], s[4:5], s54, v3, 0
	v_add3_u32 v5, v5, v11, v7
	v_sub_u32_e32 v7, v9, v5
	v_mov_b32_e32 v11, s55
	v_sub_co_u32_e32 v4, vcc, v10, v4
	v_subb_co_u32_e64 v7, s[4:5], v7, v11, vcc
	v_subrev_co_u32_e64 v10, s[4:5], s54, v4
	v_subbrev_co_u32_e64 v7, s[4:5], 0, v7, s[4:5]
	v_cmp_le_u32_e64 s[4:5], s55, v7
	v_cndmask_b32_e64 v11, 0, -1, s[4:5]
	v_cmp_le_u32_e64 s[4:5], s54, v10
	v_cndmask_b32_e64 v10, 0, -1, s[4:5]
	v_cmp_eq_u32_e64 s[4:5], s55, v7
	v_cndmask_b32_e64 v7, v11, v10, s[4:5]
	v_add_co_u32_e64 v10, s[4:5], 2, v3
	v_subb_co_u32_e32 v5, vcc, v9, v5, vcc
	v_addc_co_u32_e64 v11, s[4:5], 0, v6, s[4:5]
	v_cmp_le_u32_e32 vcc, s55, v5
	v_add_co_u32_e64 v12, s[4:5], 1, v3
	v_cndmask_b32_e64 v9, 0, -1, vcc
	v_cmp_le_u32_e32 vcc, s54, v4
	v_addc_co_u32_e64 v13, s[4:5], 0, v6, s[4:5]
	v_cndmask_b32_e64 v4, 0, -1, vcc
	v_cmp_eq_u32_e32 vcc, s55, v5
	v_cmp_ne_u32_e64 s[4:5], 0, v7
	v_cndmask_b32_e32 v4, v9, v4, vcc
	v_cmp_ne_u32_e32 vcc, 0, v4
	v_cndmask_b32_e64 v5, v12, v10, s[4:5]
	v_cndmask_b32_e64 v7, v13, v11, s[4:5]
	v_cndmask_b32_e32 v3, v3, v5, vcc
	v_xor_b32_e32 v5, s52, v8
	v_cndmask_b32_e32 v4, v6, v7, vcc
	v_xor_b32_e32 v3, v3, v5
	v_xor_b32_e32 v4, v4, v5
	v_sub_co_u32_e32 v6, vcc, v3, v5
	v_subb_co_u32_e32 v7, vcc, v4, v5, vcc
.LBB27_5:                               ;   in Loop: Header=BB27_3 Depth=1
	s_andn2_saveexec_b64 s[4:5], s[6:7]
	s_cbranch_execz .LBB27_7
; %bb.6:                                ;   in Loop: Header=BB27_3 Depth=1
	s_sub_i32 s6, 0, s22
	v_mul_lo_u32 v3, s6, v32
	v_mul_hi_u32 v3, v32, v3
	v_add_u32_e32 v3, v32, v3
	v_mul_hi_u32 v3, v0, v3
	v_mul_lo_u32 v4, v3, s22
	v_sub_u32_e32 v4, v0, v4
	v_subrev_u32_e32 v5, s22, v4
	v_cmp_le_u32_e32 vcc, s22, v4
	v_cndmask_b32_e32 v4, v4, v5, vcc
	v_add_u32_e32 v5, 1, v3
	v_cndmask_b32_e32 v3, v3, v5, vcc
	v_add_u32_e32 v5, 1, v3
	v_cmp_le_u32_e32 vcc, s22, v4
	v_cndmask_b32_e32 v6, v3, v5, vcc
	v_mov_b32_e32 v7, v2
.LBB27_7:                               ;   in Loop: Header=BB27_3 Depth=1
	s_or_b64 exec, exec, s[4:5]
	v_add_co_u32_e32 v10, vcc, s33, v6
	v_addc_co_u32_e32 v11, vcc, v7, v33, vcc
	v_cmp_le_i64_e32 vcc, s[34:35], v[10:11]
	v_pk_mov_b32 v[4:5], 0, 0
	s_and_saveexec_b64 s[6:7], vcc
	s_cbranch_execz .LBB27_13
; %bb.8:                                ;   in Loop: Header=BB27_3 Depth=1
	v_mov_b32_e32 v3, s35
	v_subrev_co_u32_e32 v8, vcc, s34, v10
	v_subb_co_u32_e32 v9, vcc, v11, v3, vcc
	v_or_b32_e32 v3, s66, v9
	v_cmp_ne_u64_e32 vcc, 0, v[2:3]
                                        ; implicit-def: $vgpr4_vgpr5
	s_and_saveexec_b64 s[4:5], vcc
	s_xor_b64 s[52:53], exec, s[4:5]
	s_cbranch_execz .LBB27_10
; %bb.9:                                ;   in Loop: Header=BB27_3 Depth=1
	s_add_u32 s4, s67, s66
	s_mov_b32 s54, s66
	s_mov_b32 s55, s66
	s_addc_u32 s5, s66, s66
	s_xor_b64 s[56:57], s[4:5], s[54:55]
	v_cvt_f32_u32_e32 v3, s56
	v_cvt_f32_u32_e32 v4, s57
	s_sub_u32 s4, 0, s56
	s_subb_u32 s5, 0, s57
	v_mac_f32_e32 v3, 0x4f800000, v4
	v_rcp_f32_e32 v3, v3
	v_mul_f32_e32 v3, 0x5f7ffffc, v3
	v_mul_f32_e32 v4, 0x2f800000, v3
	v_trunc_f32_e32 v4, v4
	v_mac_f32_e32 v3, 0xcf800000, v4
	v_cvt_u32_f32_e32 v4, v4
	v_cvt_u32_f32_e32 v3, v3
	v_mul_lo_u32 v5, s4, v4
	v_mul_hi_u32 v13, s4, v3
	v_mul_lo_u32 v12, s5, v3
	v_add_u32_e32 v5, v13, v5
	v_mul_lo_u32 v14, s4, v3
	v_add_u32_e32 v5, v5, v12
	v_mul_lo_u32 v13, v3, v5
	v_mul_hi_u32 v15, v3, v14
	v_mul_hi_u32 v12, v3, v5
	v_add_co_u32_e32 v13, vcc, v15, v13
	v_addc_co_u32_e32 v12, vcc, 0, v12, vcc
	v_mul_hi_u32 v16, v4, v14
	v_mul_lo_u32 v14, v4, v14
	v_add_co_u32_e32 v13, vcc, v13, v14
	v_mul_hi_u32 v15, v4, v5
	v_addc_co_u32_e32 v12, vcc, v12, v16, vcc
	v_addc_co_u32_e32 v13, vcc, 0, v15, vcc
	v_mul_lo_u32 v5, v4, v5
	v_add_co_u32_e32 v5, vcc, v12, v5
	v_addc_co_u32_e32 v12, vcc, 0, v13, vcc
	v_add_co_u32_e32 v3, vcc, v3, v5
	v_addc_co_u32_e32 v4, vcc, v4, v12, vcc
	v_mul_lo_u32 v5, s4, v4
	v_mul_hi_u32 v12, s4, v3
	v_add_u32_e32 v5, v12, v5
	v_mul_lo_u32 v12, s5, v3
	v_add_u32_e32 v5, v5, v12
	v_mul_lo_u32 v13, s4, v3
	v_mul_hi_u32 v14, v4, v13
	v_mul_lo_u32 v15, v4, v13
	v_mul_lo_u32 v17, v3, v5
	v_mul_hi_u32 v13, v3, v13
	v_mul_hi_u32 v16, v3, v5
	v_add_co_u32_e32 v13, vcc, v13, v17
	v_addc_co_u32_e32 v16, vcc, 0, v16, vcc
	v_add_co_u32_e32 v13, vcc, v13, v15
	v_mul_hi_u32 v12, v4, v5
	v_addc_co_u32_e32 v13, vcc, v16, v14, vcc
	v_addc_co_u32_e32 v12, vcc, 0, v12, vcc
	v_mul_lo_u32 v5, v4, v5
	v_add_co_u32_e32 v5, vcc, v13, v5
	v_addc_co_u32_e32 v12, vcc, 0, v12, vcc
	v_add_co_u32_e32 v3, vcc, v3, v5
	v_addc_co_u32_e32 v12, vcc, v4, v12, vcc
	v_ashrrev_i32_e32 v13, 31, v9
	v_add_co_u32_e32 v4, vcc, v8, v13
	v_addc_co_u32_e32 v5, vcc, v9, v13, vcc
	v_xor_b32_e32 v15, v4, v13
	v_xor_b32_e32 v14, v5, v13
	v_mad_u64_u32 v[4:5], s[4:5], v15, v12, 0
	v_mul_hi_u32 v8, v15, v3
	v_add_co_u32_e32 v16, vcc, v8, v4
	v_addc_co_u32_e32 v17, vcc, 0, v5, vcc
	v_mad_u64_u32 v[8:9], s[4:5], v14, v3, 0
	v_add_co_u32_e32 v3, vcc, v16, v8
	v_mad_u64_u32 v[4:5], s[4:5], v14, v12, 0
	v_addc_co_u32_e32 v3, vcc, v17, v9, vcc
	v_addc_co_u32_e32 v5, vcc, 0, v5, vcc
	v_add_co_u32_e32 v3, vcc, v3, v4
	v_addc_co_u32_e32 v8, vcc, 0, v5, vcc
	v_mul_lo_u32 v9, s57, v3
	v_mul_lo_u32 v12, s56, v8
	v_mad_u64_u32 v[4:5], s[4:5], s56, v3, 0
	v_add3_u32 v5, v5, v12, v9
	v_sub_u32_e32 v9, v14, v5
	v_mov_b32_e32 v12, s57
	v_sub_co_u32_e32 v4, vcc, v15, v4
	v_subb_co_u32_e64 v9, s[4:5], v9, v12, vcc
	v_subrev_co_u32_e64 v12, s[4:5], s56, v4
	v_subbrev_co_u32_e64 v9, s[4:5], 0, v9, s[4:5]
	v_cmp_le_u32_e64 s[4:5], s57, v9
	v_cndmask_b32_e64 v15, 0, -1, s[4:5]
	v_cmp_le_u32_e64 s[4:5], s56, v12
	v_cndmask_b32_e64 v12, 0, -1, s[4:5]
	v_cmp_eq_u32_e64 s[4:5], s57, v9
	v_cndmask_b32_e64 v9, v15, v12, s[4:5]
	v_add_co_u32_e64 v12, s[4:5], 2, v3
	v_subb_co_u32_e32 v5, vcc, v14, v5, vcc
	v_addc_co_u32_e64 v15, s[4:5], 0, v8, s[4:5]
	v_cmp_le_u32_e32 vcc, s57, v5
	v_add_co_u32_e64 v16, s[4:5], 1, v3
	v_cndmask_b32_e64 v14, 0, -1, vcc
	v_cmp_le_u32_e32 vcc, s56, v4
	v_addc_co_u32_e64 v17, s[4:5], 0, v8, s[4:5]
	v_cndmask_b32_e64 v4, 0, -1, vcc
	v_cmp_eq_u32_e32 vcc, s57, v5
	v_cmp_ne_u32_e64 s[4:5], 0, v9
	v_cndmask_b32_e32 v4, v14, v4, vcc
	v_cndmask_b32_e64 v9, v17, v15, s[4:5]
	v_cmp_ne_u32_e32 vcc, 0, v4
	v_cndmask_b32_e64 v5, v16, v12, s[4:5]
	v_cndmask_b32_e32 v4, v8, v9, vcc
	v_cndmask_b32_e32 v3, v3, v5, vcc
	v_xor_b32_e32 v8, s54, v13
	v_xor_b32_e32 v5, s55, v13
	v_xor_b32_e32 v3, v3, v8
	v_xor_b32_e32 v9, v4, v5
	v_sub_co_u32_e32 v4, vcc, v3, v8
	v_subb_co_u32_e32 v5, vcc, v9, v5, vcc
                                        ; implicit-def: $vgpr8
.LBB27_10:                              ;   in Loop: Header=BB27_3 Depth=1
	s_andn2_saveexec_b64 s[4:5], s[52:53]
	s_cbranch_execz .LBB27_12
; %bb.11:                               ;   in Loop: Header=BB27_3 Depth=1
	v_cvt_f32_u32_e32 v3, s67
	s_sub_i32 s52, 0, s67
	v_rcp_iflag_f32_e32 v3, v3
	v_mul_f32_e32 v3, 0x4f7ffffe, v3
	v_cvt_u32_f32_e32 v3, v3
	v_mul_lo_u32 v4, s52, v3
	v_mul_hi_u32 v4, v3, v4
	v_add_u32_e32 v3, v3, v4
	v_mul_hi_u32 v3, v8, v3
	v_mul_lo_u32 v4, v3, s67
	v_sub_u32_e32 v4, v8, v4
	v_add_u32_e32 v5, 1, v3
	v_subrev_u32_e32 v8, s67, v4
	v_cmp_le_u32_e32 vcc, s67, v4
	v_cndmask_b32_e32 v4, v4, v8, vcc
	v_cndmask_b32_e32 v3, v3, v5, vcc
	v_add_u32_e32 v5, 1, v3
	v_cmp_le_u32_e32 vcc, s67, v4
	v_cndmask_b32_e32 v4, v3, v5, vcc
	v_mov_b32_e32 v5, v2
.LBB27_12:                              ;   in Loop: Header=BB27_3 Depth=1
	s_or_b64 exec, exec, s[4:5]
	v_add_co_u32_e32 v4, vcc, 1, v4
	v_addc_co_u32_e32 v5, vcc, 0, v5, vcc
.LBB27_13:                              ;   in Loop: Header=BB27_3 Depth=1
	s_or_b64 exec, exec, s[6:7]
	v_or_b32_e32 v3, s66, v11
	v_cmp_ne_u64_e32 vcc, 0, v[2:3]
                                        ; implicit-def: $vgpr8_vgpr9
	s_and_saveexec_b64 s[4:5], vcc
	s_xor_b64 s[6:7], exec, s[4:5]
	s_cbranch_execz .LBB27_15
; %bb.14:                               ;   in Loop: Header=BB27_3 Depth=1
	s_add_u32 s4, s67, s66
	s_mov_b32 s52, s66
	s_mov_b32 s53, s66
	s_addc_u32 s5, s66, s66
	s_xor_b64 s[54:55], s[4:5], s[52:53]
	v_cvt_f32_u32_e32 v3, s54
	v_cvt_f32_u32_e32 v8, s55
	s_sub_u32 s4, 0, s54
	s_subb_u32 s5, 0, s55
	v_mac_f32_e32 v3, 0x4f800000, v8
	v_rcp_f32_e32 v3, v3
	v_mul_f32_e32 v3, 0x5f7ffffc, v3
	v_mul_f32_e32 v8, 0x2f800000, v3
	v_trunc_f32_e32 v8, v8
	v_mac_f32_e32 v3, 0xcf800000, v8
	v_cvt_u32_f32_e32 v8, v8
	v_cvt_u32_f32_e32 v3, v3
	v_mul_lo_u32 v9, s4, v8
	v_mul_hi_u32 v13, s4, v3
	v_mul_lo_u32 v12, s5, v3
	v_add_u32_e32 v9, v13, v9
	v_mul_lo_u32 v14, s4, v3
	v_add_u32_e32 v9, v9, v12
	v_mul_lo_u32 v13, v3, v9
	v_mul_hi_u32 v15, v3, v14
	v_mul_hi_u32 v12, v3, v9
	v_add_co_u32_e32 v13, vcc, v15, v13
	v_addc_co_u32_e32 v12, vcc, 0, v12, vcc
	v_mul_hi_u32 v16, v8, v14
	v_mul_lo_u32 v14, v8, v14
	v_add_co_u32_e32 v13, vcc, v13, v14
	v_mul_hi_u32 v15, v8, v9
	v_addc_co_u32_e32 v12, vcc, v12, v16, vcc
	v_addc_co_u32_e32 v13, vcc, 0, v15, vcc
	v_mul_lo_u32 v9, v8, v9
	v_add_co_u32_e32 v9, vcc, v12, v9
	v_addc_co_u32_e32 v12, vcc, 0, v13, vcc
	v_add_co_u32_e32 v3, vcc, v3, v9
	v_addc_co_u32_e32 v8, vcc, v8, v12, vcc
	v_mul_lo_u32 v9, s4, v8
	v_mul_hi_u32 v12, s4, v3
	v_add_u32_e32 v9, v12, v9
	v_mul_lo_u32 v12, s5, v3
	v_add_u32_e32 v9, v9, v12
	v_mul_lo_u32 v13, s4, v3
	v_mul_hi_u32 v14, v8, v13
	v_mul_lo_u32 v15, v8, v13
	v_mul_lo_u32 v17, v3, v9
	v_mul_hi_u32 v13, v3, v13
	v_mul_hi_u32 v16, v3, v9
	v_add_co_u32_e32 v13, vcc, v13, v17
	v_addc_co_u32_e32 v16, vcc, 0, v16, vcc
	v_add_co_u32_e32 v13, vcc, v13, v15
	v_mul_hi_u32 v12, v8, v9
	v_addc_co_u32_e32 v13, vcc, v16, v14, vcc
	v_addc_co_u32_e32 v12, vcc, 0, v12, vcc
	v_mul_lo_u32 v9, v8, v9
	v_add_co_u32_e32 v9, vcc, v13, v9
	v_addc_co_u32_e32 v12, vcc, 0, v12, vcc
	v_add_co_u32_e32 v3, vcc, v3, v9
	v_addc_co_u32_e32 v12, vcc, v8, v12, vcc
	v_ashrrev_i32_e32 v13, 31, v11
	v_add_co_u32_e32 v8, vcc, v10, v13
	v_addc_co_u32_e32 v9, vcc, v11, v13, vcc
	v_xor_b32_e32 v15, v8, v13
	v_xor_b32_e32 v14, v9, v13
	v_mad_u64_u32 v[8:9], s[4:5], v15, v12, 0
	v_mul_hi_u32 v10, v15, v3
	v_add_co_u32_e32 v16, vcc, v10, v8
	v_addc_co_u32_e32 v17, vcc, 0, v9, vcc
	v_mad_u64_u32 v[10:11], s[4:5], v14, v3, 0
	v_add_co_u32_e32 v3, vcc, v16, v10
	v_mad_u64_u32 v[8:9], s[4:5], v14, v12, 0
	v_addc_co_u32_e32 v3, vcc, v17, v11, vcc
	v_addc_co_u32_e32 v9, vcc, 0, v9, vcc
	v_add_co_u32_e32 v3, vcc, v3, v8
	v_addc_co_u32_e32 v10, vcc, 0, v9, vcc
	v_mul_lo_u32 v11, s55, v3
	v_mul_lo_u32 v12, s54, v10
	v_mad_u64_u32 v[8:9], s[4:5], s54, v3, 0
	v_add3_u32 v9, v9, v12, v11
	v_sub_u32_e32 v11, v14, v9
	v_mov_b32_e32 v12, s55
	v_sub_co_u32_e32 v8, vcc, v15, v8
	v_subb_co_u32_e64 v11, s[4:5], v11, v12, vcc
	v_subrev_co_u32_e64 v12, s[4:5], s54, v8
	v_subbrev_co_u32_e64 v11, s[4:5], 0, v11, s[4:5]
	v_cmp_le_u32_e64 s[4:5], s55, v11
	v_cndmask_b32_e64 v15, 0, -1, s[4:5]
	v_cmp_le_u32_e64 s[4:5], s54, v12
	v_cndmask_b32_e64 v12, 0, -1, s[4:5]
	v_cmp_eq_u32_e64 s[4:5], s55, v11
	v_cndmask_b32_e64 v11, v15, v12, s[4:5]
	v_add_co_u32_e64 v12, s[4:5], 2, v3
	v_subb_co_u32_e32 v9, vcc, v14, v9, vcc
	v_addc_co_u32_e64 v15, s[4:5], 0, v10, s[4:5]
	v_cmp_le_u32_e32 vcc, s55, v9
	v_add_co_u32_e64 v16, s[4:5], 1, v3
	v_cndmask_b32_e64 v14, 0, -1, vcc
	v_cmp_le_u32_e32 vcc, s54, v8
	v_addc_co_u32_e64 v17, s[4:5], 0, v10, s[4:5]
	v_cndmask_b32_e64 v8, 0, -1, vcc
	v_cmp_eq_u32_e32 vcc, s55, v9
	v_cmp_ne_u32_e64 s[4:5], 0, v11
	v_cndmask_b32_e32 v8, v14, v8, vcc
	v_cndmask_b32_e64 v11, v17, v15, s[4:5]
	v_cmp_ne_u32_e32 vcc, 0, v8
	v_cndmask_b32_e64 v9, v16, v12, s[4:5]
	v_cndmask_b32_e32 v8, v10, v11, vcc
	v_cndmask_b32_e32 v3, v3, v9, vcc
	v_xor_b32_e32 v10, s52, v13
	v_xor_b32_e32 v9, s53, v13
	;; [unrolled: 1-line block ×4, first 2 shown]
	v_sub_co_u32_e32 v8, vcc, v3, v10
	v_subb_co_u32_e32 v9, vcc, v11, v9, vcc
                                        ; implicit-def: $vgpr10
.LBB27_15:                              ;   in Loop: Header=BB27_3 Depth=1
	s_andn2_saveexec_b64 s[4:5], s[6:7]
	s_cbranch_execz .LBB27_17
; %bb.16:                               ;   in Loop: Header=BB27_3 Depth=1
	v_cvt_f32_u32_e32 v3, s67
	s_sub_i32 s6, 0, s67
	v_rcp_iflag_f32_e32 v3, v3
	v_mul_f32_e32 v3, 0x4f7ffffe, v3
	v_cvt_u32_f32_e32 v3, v3
	v_mul_lo_u32 v8, s6, v3
	v_mul_hi_u32 v8, v3, v8
	v_add_u32_e32 v3, v3, v8
	v_mul_hi_u32 v3, v10, v3
	v_mul_lo_u32 v8, v3, s67
	v_sub_u32_e32 v8, v10, v8
	v_add_u32_e32 v9, 1, v3
	v_subrev_u32_e32 v10, s67, v8
	v_cmp_le_u32_e32 vcc, s67, v8
	v_cndmask_b32_e32 v8, v8, v10, vcc
	v_cndmask_b32_e32 v3, v3, v9, vcc
	v_add_u32_e32 v9, 1, v3
	v_cmp_le_u32_e32 vcc, s67, v8
	v_cndmask_b32_e32 v8, v3, v9, vcc
	v_mov_b32_e32 v9, v2
.LBB27_17:                              ;   in Loop: Header=BB27_3 Depth=1
	s_or_b64 exec, exec, s[4:5]
	v_mul_lo_u32 v3, v7, s22
	v_mul_lo_u32 v10, v6, s23
	v_mad_u64_u32 v[6:7], s[4:5], v6, s22, 0
	v_add3_u32 v3, v7, v10, v3
	v_sub_co_u32_e32 v6, vcc, v0, v6
	v_subb_co_u32_e32 v3, vcc, v1, v3, vcc
	v_mov_b32_e32 v7, s68
	v_add_co_u32_e32 v10, vcc, s69, v6
	v_addc_co_u32_e32 v11, vcc, v3, v7, vcc
	v_cmp_le_i64_e32 vcc, s[36:37], v[10:11]
	v_pk_mov_b32 v[6:7], 0, 0
	s_and_saveexec_b64 s[6:7], vcc
	s_cbranch_execz .LBB27_23
; %bb.18:                               ;   in Loop: Header=BB27_3 Depth=1
	v_mov_b32_e32 v3, s37
	v_subrev_co_u32_e32 v12, vcc, s36, v10
	v_subb_co_u32_e32 v13, vcc, v11, v3, vcc
	v_or_b32_e32 v3, s70, v13
	v_cmp_ne_u64_e32 vcc, 0, v[2:3]
                                        ; implicit-def: $vgpr6_vgpr7
	s_and_saveexec_b64 s[4:5], vcc
	s_xor_b64 s[52:53], exec, s[4:5]
	s_cbranch_execz .LBB27_20
; %bb.19:                               ;   in Loop: Header=BB27_3 Depth=1
	s_add_u32 s4, s71, s70
	s_mov_b32 s54, s70
	s_mov_b32 s55, s70
	s_addc_u32 s5, s70, s70
	s_xor_b64 s[56:57], s[4:5], s[54:55]
	v_cvt_f32_u32_e32 v3, s56
	v_cvt_f32_u32_e32 v6, s57
	s_sub_u32 s4, 0, s56
	s_subb_u32 s5, 0, s57
	v_mac_f32_e32 v3, 0x4f800000, v6
	v_rcp_f32_e32 v3, v3
	v_mul_f32_e32 v3, 0x5f7ffffc, v3
	v_mul_f32_e32 v6, 0x2f800000, v3
	v_trunc_f32_e32 v6, v6
	v_mac_f32_e32 v3, 0xcf800000, v6
	v_cvt_u32_f32_e32 v6, v6
	v_cvt_u32_f32_e32 v3, v3
	v_mul_lo_u32 v7, s4, v6
	v_mul_hi_u32 v15, s4, v3
	v_mul_lo_u32 v14, s5, v3
	v_add_u32_e32 v7, v15, v7
	v_mul_lo_u32 v16, s4, v3
	v_add_u32_e32 v7, v7, v14
	v_mul_lo_u32 v15, v3, v7
	v_mul_hi_u32 v17, v3, v16
	v_mul_hi_u32 v14, v3, v7
	v_add_co_u32_e32 v15, vcc, v17, v15
	v_addc_co_u32_e32 v14, vcc, 0, v14, vcc
	v_mul_hi_u32 v18, v6, v16
	v_mul_lo_u32 v16, v6, v16
	v_add_co_u32_e32 v15, vcc, v15, v16
	v_mul_hi_u32 v17, v6, v7
	v_addc_co_u32_e32 v14, vcc, v14, v18, vcc
	v_addc_co_u32_e32 v15, vcc, 0, v17, vcc
	v_mul_lo_u32 v7, v6, v7
	v_add_co_u32_e32 v7, vcc, v14, v7
	v_addc_co_u32_e32 v14, vcc, 0, v15, vcc
	v_add_co_u32_e32 v3, vcc, v3, v7
	v_addc_co_u32_e32 v6, vcc, v6, v14, vcc
	v_mul_lo_u32 v7, s4, v6
	v_mul_hi_u32 v14, s4, v3
	v_add_u32_e32 v7, v14, v7
	v_mul_lo_u32 v14, s5, v3
	v_add_u32_e32 v7, v7, v14
	v_mul_lo_u32 v15, s4, v3
	v_mul_hi_u32 v16, v6, v15
	v_mul_lo_u32 v17, v6, v15
	v_mul_lo_u32 v19, v3, v7
	v_mul_hi_u32 v15, v3, v15
	v_mul_hi_u32 v18, v3, v7
	v_add_co_u32_e32 v15, vcc, v15, v19
	v_addc_co_u32_e32 v18, vcc, 0, v18, vcc
	v_add_co_u32_e32 v15, vcc, v15, v17
	v_mul_hi_u32 v14, v6, v7
	v_addc_co_u32_e32 v15, vcc, v18, v16, vcc
	v_addc_co_u32_e32 v14, vcc, 0, v14, vcc
	v_mul_lo_u32 v7, v6, v7
	v_add_co_u32_e32 v7, vcc, v15, v7
	v_addc_co_u32_e32 v14, vcc, 0, v14, vcc
	v_add_co_u32_e32 v3, vcc, v3, v7
	v_addc_co_u32_e32 v14, vcc, v6, v14, vcc
	v_ashrrev_i32_e32 v15, 31, v13
	v_add_co_u32_e32 v6, vcc, v12, v15
	v_addc_co_u32_e32 v7, vcc, v13, v15, vcc
	v_xor_b32_e32 v17, v6, v15
	v_xor_b32_e32 v16, v7, v15
	v_mad_u64_u32 v[6:7], s[4:5], v17, v14, 0
	v_mul_hi_u32 v12, v17, v3
	v_add_co_u32_e32 v18, vcc, v12, v6
	v_addc_co_u32_e32 v19, vcc, 0, v7, vcc
	v_mad_u64_u32 v[12:13], s[4:5], v16, v3, 0
	v_add_co_u32_e32 v3, vcc, v18, v12
	v_mad_u64_u32 v[6:7], s[4:5], v16, v14, 0
	v_addc_co_u32_e32 v3, vcc, v19, v13, vcc
	v_addc_co_u32_e32 v7, vcc, 0, v7, vcc
	v_add_co_u32_e32 v3, vcc, v3, v6
	v_addc_co_u32_e32 v12, vcc, 0, v7, vcc
	v_mul_lo_u32 v13, s57, v3
	v_mul_lo_u32 v14, s56, v12
	v_mad_u64_u32 v[6:7], s[4:5], s56, v3, 0
	v_add3_u32 v7, v7, v14, v13
	v_sub_u32_e32 v13, v16, v7
	v_mov_b32_e32 v14, s57
	v_sub_co_u32_e32 v6, vcc, v17, v6
	v_subb_co_u32_e64 v13, s[4:5], v13, v14, vcc
	v_subrev_co_u32_e64 v14, s[4:5], s56, v6
	v_subbrev_co_u32_e64 v13, s[4:5], 0, v13, s[4:5]
	v_cmp_le_u32_e64 s[4:5], s57, v13
	v_cndmask_b32_e64 v17, 0, -1, s[4:5]
	v_cmp_le_u32_e64 s[4:5], s56, v14
	v_cndmask_b32_e64 v14, 0, -1, s[4:5]
	v_cmp_eq_u32_e64 s[4:5], s57, v13
	v_cndmask_b32_e64 v13, v17, v14, s[4:5]
	v_add_co_u32_e64 v14, s[4:5], 2, v3
	v_subb_co_u32_e32 v7, vcc, v16, v7, vcc
	v_addc_co_u32_e64 v17, s[4:5], 0, v12, s[4:5]
	v_cmp_le_u32_e32 vcc, s57, v7
	v_add_co_u32_e64 v18, s[4:5], 1, v3
	v_cndmask_b32_e64 v16, 0, -1, vcc
	v_cmp_le_u32_e32 vcc, s56, v6
	v_addc_co_u32_e64 v19, s[4:5], 0, v12, s[4:5]
	v_cndmask_b32_e64 v6, 0, -1, vcc
	v_cmp_eq_u32_e32 vcc, s57, v7
	v_cmp_ne_u32_e64 s[4:5], 0, v13
	v_cndmask_b32_e32 v6, v16, v6, vcc
	v_cndmask_b32_e64 v13, v19, v17, s[4:5]
	v_cmp_ne_u32_e32 vcc, 0, v6
	v_cndmask_b32_e64 v7, v18, v14, s[4:5]
	v_cndmask_b32_e32 v6, v12, v13, vcc
	v_cndmask_b32_e32 v3, v3, v7, vcc
	v_xor_b32_e32 v12, s54, v15
	v_xor_b32_e32 v7, s55, v15
	;; [unrolled: 1-line block ×4, first 2 shown]
	v_sub_co_u32_e32 v6, vcc, v3, v12
	v_subb_co_u32_e32 v7, vcc, v13, v7, vcc
                                        ; implicit-def: $vgpr12
.LBB27_20:                              ;   in Loop: Header=BB27_3 Depth=1
	s_andn2_saveexec_b64 s[4:5], s[52:53]
	s_cbranch_execz .LBB27_22
; %bb.21:                               ;   in Loop: Header=BB27_3 Depth=1
	v_cvt_f32_u32_e32 v3, s71
	s_sub_i32 s52, 0, s71
	v_rcp_iflag_f32_e32 v3, v3
	v_mul_f32_e32 v3, 0x4f7ffffe, v3
	v_cvt_u32_f32_e32 v3, v3
	v_mul_lo_u32 v6, s52, v3
	v_mul_hi_u32 v6, v3, v6
	v_add_u32_e32 v3, v3, v6
	v_mul_hi_u32 v3, v12, v3
	v_mul_lo_u32 v6, v3, s71
	v_sub_u32_e32 v6, v12, v6
	v_add_u32_e32 v7, 1, v3
	v_subrev_u32_e32 v12, s71, v6
	v_cmp_le_u32_e32 vcc, s71, v6
	v_cndmask_b32_e32 v6, v6, v12, vcc
	v_cndmask_b32_e32 v3, v3, v7, vcc
	v_add_u32_e32 v7, 1, v3
	v_cmp_le_u32_e32 vcc, s71, v6
	v_cndmask_b32_e32 v6, v3, v7, vcc
	v_mov_b32_e32 v7, v2
.LBB27_22:                              ;   in Loop: Header=BB27_3 Depth=1
	s_or_b64 exec, exec, s[4:5]
	v_add_co_u32_e32 v6, vcc, 1, v6
	v_addc_co_u32_e32 v7, vcc, 0, v7, vcc
.LBB27_23:                              ;   in Loop: Header=BB27_3 Depth=1
	s_or_b64 exec, exec, s[6:7]
	v_or_b32_e32 v3, s70, v11
	v_cmp_ne_u64_e32 vcc, 0, v[2:3]
                                        ; implicit-def: $vgpr12_vgpr13
	s_and_saveexec_b64 s[4:5], vcc
	s_xor_b64 s[6:7], exec, s[4:5]
	s_cbranch_execnz .LBB27_26
; %bb.24:                               ;   in Loop: Header=BB27_3 Depth=1
	s_andn2_saveexec_b64 s[4:5], s[6:7]
	s_cbranch_execnz .LBB27_27
.LBB27_25:                              ;   in Loop: Header=BB27_3 Depth=1
	s_or_b64 exec, exec, s[4:5]
	s_andn2_b64 vcc, exec, s[0:1]
	s_cbranch_vccnz .LBB27_2
	s_branch .LBB27_28
.LBB27_26:                              ;   in Loop: Header=BB27_3 Depth=1
	s_add_u32 s4, s71, s70
	s_mov_b32 s52, s70
	s_mov_b32 s53, s70
	s_addc_u32 s5, s70, s70
	s_xor_b64 s[54:55], s[4:5], s[52:53]
	v_cvt_f32_u32_e32 v3, s54
	v_cvt_f32_u32_e32 v12, s55
	s_sub_u32 s4, 0, s54
	s_subb_u32 s5, 0, s55
	v_mac_f32_e32 v3, 0x4f800000, v12
	v_rcp_f32_e32 v3, v3
	v_mul_f32_e32 v3, 0x5f7ffffc, v3
	v_mul_f32_e32 v12, 0x2f800000, v3
	v_trunc_f32_e32 v12, v12
	v_mac_f32_e32 v3, 0xcf800000, v12
	v_cvt_u32_f32_e32 v12, v12
	v_cvt_u32_f32_e32 v3, v3
	v_mul_lo_u32 v13, s4, v12
	v_mul_hi_u32 v15, s4, v3
	v_mul_lo_u32 v14, s5, v3
	v_add_u32_e32 v13, v15, v13
	v_mul_lo_u32 v16, s4, v3
	v_add_u32_e32 v13, v13, v14
	v_mul_lo_u32 v15, v3, v13
	v_mul_hi_u32 v17, v3, v16
	v_mul_hi_u32 v14, v3, v13
	v_add_co_u32_e32 v15, vcc, v17, v15
	v_addc_co_u32_e32 v14, vcc, 0, v14, vcc
	v_mul_hi_u32 v18, v12, v16
	v_mul_lo_u32 v16, v12, v16
	v_add_co_u32_e32 v15, vcc, v15, v16
	v_mul_hi_u32 v17, v12, v13
	v_addc_co_u32_e32 v14, vcc, v14, v18, vcc
	v_addc_co_u32_e32 v15, vcc, 0, v17, vcc
	v_mul_lo_u32 v13, v12, v13
	v_add_co_u32_e32 v13, vcc, v14, v13
	v_addc_co_u32_e32 v14, vcc, 0, v15, vcc
	v_add_co_u32_e32 v3, vcc, v3, v13
	v_addc_co_u32_e32 v12, vcc, v12, v14, vcc
	v_mul_lo_u32 v13, s4, v12
	v_mul_hi_u32 v14, s4, v3
	v_add_u32_e32 v13, v14, v13
	v_mul_lo_u32 v14, s5, v3
	v_add_u32_e32 v13, v13, v14
	v_mul_lo_u32 v15, s4, v3
	v_mul_hi_u32 v16, v12, v15
	v_mul_lo_u32 v17, v12, v15
	v_mul_lo_u32 v19, v3, v13
	v_mul_hi_u32 v15, v3, v15
	v_mul_hi_u32 v18, v3, v13
	v_add_co_u32_e32 v15, vcc, v15, v19
	v_addc_co_u32_e32 v18, vcc, 0, v18, vcc
	v_add_co_u32_e32 v15, vcc, v15, v17
	v_mul_hi_u32 v14, v12, v13
	v_addc_co_u32_e32 v15, vcc, v18, v16, vcc
	v_addc_co_u32_e32 v14, vcc, 0, v14, vcc
	v_mul_lo_u32 v13, v12, v13
	v_add_co_u32_e32 v13, vcc, v15, v13
	v_addc_co_u32_e32 v14, vcc, 0, v14, vcc
	v_add_co_u32_e32 v3, vcc, v3, v13
	v_addc_co_u32_e32 v12, vcc, v12, v14, vcc
	v_ashrrev_i32_e32 v14, 31, v11
	v_add_co_u32_e32 v10, vcc, v10, v14
	v_addc_co_u32_e32 v11, vcc, v11, v14, vcc
	v_xor_b32_e32 v16, v10, v14
	v_xor_b32_e32 v15, v11, v14
	v_mad_u64_u32 v[10:11], s[4:5], v16, v12, 0
	v_mul_hi_u32 v13, v16, v3
	v_add_co_u32_e32 v17, vcc, v13, v10
	v_addc_co_u32_e32 v18, vcc, 0, v11, vcc
	v_mad_u64_u32 v[10:11], s[4:5], v15, v12, 0
	v_mad_u64_u32 v[12:13], s[4:5], v15, v3, 0
	v_add_co_u32_e32 v3, vcc, v17, v12
	v_addc_co_u32_e32 v3, vcc, v18, v13, vcc
	v_addc_co_u32_e32 v11, vcc, 0, v11, vcc
	v_add_co_u32_e32 v3, vcc, v3, v10
	v_addc_co_u32_e32 v12, vcc, 0, v11, vcc
	v_mul_lo_u32 v13, s55, v3
	v_mul_lo_u32 v17, s54, v12
	v_mad_u64_u32 v[10:11], s[4:5], s54, v3, 0
	v_add3_u32 v11, v11, v17, v13
	v_sub_u32_e32 v13, v15, v11
	v_mov_b32_e32 v17, s55
	v_sub_co_u32_e32 v10, vcc, v16, v10
	v_subb_co_u32_e64 v13, s[4:5], v13, v17, vcc
	v_subrev_co_u32_e64 v16, s[4:5], s54, v10
	v_subbrev_co_u32_e64 v13, s[4:5], 0, v13, s[4:5]
	v_cmp_le_u32_e64 s[4:5], s55, v13
	v_cndmask_b32_e64 v17, 0, -1, s[4:5]
	v_cmp_le_u32_e64 s[4:5], s54, v16
	v_cndmask_b32_e64 v16, 0, -1, s[4:5]
	v_cmp_eq_u32_e64 s[4:5], s55, v13
	v_cndmask_b32_e64 v13, v17, v16, s[4:5]
	v_add_co_u32_e64 v16, s[4:5], 2, v3
	v_subb_co_u32_e32 v11, vcc, v15, v11, vcc
	v_addc_co_u32_e64 v17, s[4:5], 0, v12, s[4:5]
	v_cmp_le_u32_e32 vcc, s55, v11
	v_add_co_u32_e64 v18, s[4:5], 1, v3
	v_cndmask_b32_e64 v15, 0, -1, vcc
	v_cmp_le_u32_e32 vcc, s54, v10
	v_addc_co_u32_e64 v19, s[4:5], 0, v12, s[4:5]
	v_cndmask_b32_e64 v10, 0, -1, vcc
	v_cmp_eq_u32_e32 vcc, s55, v11
	v_cmp_ne_u32_e64 s[4:5], 0, v13
	v_cndmask_b32_e32 v10, v15, v10, vcc
	v_cndmask_b32_e64 v13, v19, v17, s[4:5]
	v_cmp_ne_u32_e32 vcc, 0, v10
	v_cndmask_b32_e64 v11, v18, v16, s[4:5]
	v_cndmask_b32_e32 v10, v12, v13, vcc
	v_cndmask_b32_e32 v3, v3, v11, vcc
	v_xor_b32_e32 v12, s52, v14
	v_xor_b32_e32 v11, s53, v14
	;; [unrolled: 1-line block ×4, first 2 shown]
	v_sub_co_u32_e32 v12, vcc, v3, v12
	v_subb_co_u32_e32 v13, vcc, v10, v11, vcc
                                        ; implicit-def: $vgpr10
	s_andn2_saveexec_b64 s[4:5], s[6:7]
	s_cbranch_execz .LBB27_25
.LBB27_27:                              ;   in Loop: Header=BB27_3 Depth=1
	v_cvt_f32_u32_e32 v3, s71
	s_sub_i32 s6, 0, s71
	v_mov_b32_e32 v13, v2
	v_rcp_iflag_f32_e32 v3, v3
	v_mul_f32_e32 v3, 0x4f7ffffe, v3
	v_cvt_u32_f32_e32 v3, v3
	v_mul_lo_u32 v11, s6, v3
	v_mul_hi_u32 v11, v3, v11
	v_add_u32_e32 v3, v3, v11
	v_mul_hi_u32 v3, v10, v3
	v_mul_lo_u32 v11, v3, s71
	v_sub_u32_e32 v10, v10, v11
	v_add_u32_e32 v12, 1, v3
	v_subrev_u32_e32 v11, s71, v10
	v_cmp_le_u32_e32 vcc, s71, v10
	v_cndmask_b32_e32 v10, v10, v11, vcc
	v_cndmask_b32_e32 v3, v3, v12, vcc
	v_add_u32_e32 v11, 1, v3
	v_cmp_le_u32_e32 vcc, s71, v10
	v_cndmask_b32_e32 v12, v3, v11, vcc
	s_or_b64 exec, exec, s[4:5]
	s_andn2_b64 vcc, exec, s[0:1]
	s_cbranch_vccnz .LBB27_2
.LBB27_28:                              ;   in Loop: Header=BB27_3 Depth=1
	v_add_co_u32_e32 v10, vcc, 1, v12
	v_addc_co_u32_e32 v11, vcc, 0, v13, vcc
	v_mov_b32_e32 v3, s27
	v_cmp_gt_i64_e32 vcc, s[26:27], v[10:11]
	v_cndmask_b32_e32 v11, v3, v11, vcc
	v_mov_b32_e32 v3, s26
	v_cndmask_b32_e32 v10, v3, v10, vcc
	v_add_co_u32_e32 v8, vcc, 1, v8
	v_addc_co_u32_e32 v9, vcc, 0, v9, vcc
	v_mov_b32_e32 v3, s25
	v_cmp_gt_i64_e32 vcc, s[24:25], v[8:9]
	v_cndmask_b32_e32 v9, v3, v9, vcc
	v_mov_b32_e32 v3, s24
	v_lshlrev_b64 v[12:13], 1, v[0:1]
	v_cndmask_b32_e32 v8, v3, v8, vcc
	v_mov_b32_e32 v14, s31
	v_add_co_u32_e32 v3, vcc, s30, v12
	v_addc_co_u32_e32 v35, vcc, v14, v13, vcc
	v_mov_b32_e32 v12, s74
	v_add_co_u32_e32 v13, vcc, s75, v4
	s_load_dword s77, s[28:29], 0x4
	v_addc_co_u32_e32 v12, vcc, v12, v5, vcc
	v_mul_lo_u32 v12, s26, v12
	v_mul_lo_u32 v16, s27, v13
	v_mad_u64_u32 v[14:15], s[52:53], s26, v13, v[6:7]
	v_add3_u32 v15, v16, v15, v12
	v_lshlrev_b64 v[12:13], 3, v[14:15]
	v_mov_b32_e32 v16, s15
	v_add_co_u32_e32 v12, vcc, s14, v12
	v_addc_co_u32_e32 v13, vcc, v16, v13, vcc
	s_waitcnt lgkmcnt(0)
	s_mul_i32 s52, s39, s77
	s_mul_hi_u32 s53, s38, s77
	v_lshlrev_b64 v[14:15], 1, v[14:15]
	s_add_i32 s78, s53, s52
	v_mov_b32_e32 v16, s13
	v_add_co_u32_e32 v14, vcc, s12, v14
	s_mul_i32 s52, s45, s77
	s_mul_hi_u32 s53, s44, s77
	v_cmp_lt_i64_e64 s[4:5], v[4:5], v[8:9]
	v_cmp_lt_i64_e64 s[6:7], v[6:7], v[10:11]
	s_mul_i32 s79, s38, s77
	v_addc_co_u32_e32 v15, vcc, v16, v15, vcc
	s_add_i32 s80, s53, s52
	s_mul_i32 s81, s44, s77
	s_mov_b64 s[52:53], s[10:11]
	s_branch .LBB27_30
.LBB27_29:                              ;   in Loop: Header=BB27_30 Depth=2
	v_mov_b32_e32 v16, s78
	v_add_co_u32_e32 v12, vcc, s79, v12
	v_addc_co_u32_e32 v13, vcc, v13, v16, vcc
	s_add_u32 s52, s52, s77
	v_mov_b32_e32 v16, s80
	v_add_co_u32_e32 v14, vcc, s81, v14
	s_addc_u32 s53, s53, 0
	v_addc_co_u32_e32 v15, vcc, v15, v16, vcc
	v_pk_mov_b32 v[16:17], s[16:17], s[16:17] op_sel:[0,1]
	v_cmp_ge_i64_e32 vcc, s[52:53], v[16:17]
	s_cbranch_vccnz .LBB27_2
.LBB27_30:                              ;   Parent Loop BB27_3 Depth=1
                                        ; =>  This Loop Header: Depth=2
                                        ;       Child Loop BB27_34 Depth 3
                                        ;         Child Loop BB27_38 Depth 4
                                        ;           Child Loop BB27_41 Depth 5
	s_andn2_b64 vcc, exec, s[2:3]
	s_cbranch_vccnz .LBB27_29
; %bb.31:                               ;   in Loop: Header=BB27_30 Depth=2
	s_load_dword s82, s[28:29], 0x8
	s_mul_i32 s54, s52, s19
	s_mul_hi_u32 s55, s52, s18
	s_add_i32 s54, s55, s54
	s_mul_i32 s55, s53, s18
	s_add_i32 s83, s54, s55
	s_waitcnt lgkmcnt(0)
	s_mul_i32 s54, s41, s82
	s_mul_hi_u32 s55, s40, s82
	s_add_i32 s85, s55, s54
	s_mul_i32 s54, s47, s82
	s_mul_hi_u32 s55, s46, s82
	s_mul_i32 s84, s52, s18
	s_mul_i32 s86, s40, s82
	s_add_i32 s87, s55, s54
	s_mul_i32 s88, s46, s82
	v_pk_mov_b32 v[16:17], v[14:15], v[14:15] op_sel:[0,1]
	v_pk_mov_b32 v[18:19], v[12:13], v[12:13] op_sel:[0,1]
	s_mov_b64 s[54:55], s[8:9]
	s_branch .LBB27_34
.LBB27_32:                              ;   in Loop: Header=BB27_34 Depth=3
	s_or_b64 exec, exec, s[58:59]
.LBB27_33:                              ;   in Loop: Header=BB27_34 Depth=3
	s_or_b64 exec, exec, s[56:57]
	s_add_u32 s56, s54, s84
	s_addc_u32 s57, s55, s83
	s_mul_i32 s57, s20, s57
	s_mul_hi_u32 s58, s20, s56
	v_bfe_u32 v20, v36, 16, 1
	s_add_i32 s57, s58, s57
	s_mul_i32 s58, s21, s56
	v_add3_u32 v20, v36, v20, s76
	s_add_i32 s57, s57, s58
	s_mul_i32 s56, s20, s56
	v_lshrrev_b32_e32 v20, 16, v20
	v_cmp_o_f32_e32 vcc, v36, v36
	s_lshl_b64 s[56:57], s[56:57], 1
	v_cndmask_b32_e32 v22, v34, v20, vcc
	v_mov_b32_e32 v21, s57
	v_add_co_u32_e32 v20, vcc, s56, v3
	v_addc_co_u32_e32 v21, vcc, v35, v21, vcc
	global_store_short v[20:21], v22, off
	v_mov_b32_e32 v20, s85
	v_add_co_u32_e32 v18, vcc, s86, v18
	v_addc_co_u32_e32 v19, vcc, v19, v20, vcc
	s_add_u32 s54, s54, s82
	v_mov_b32_e32 v20, s87
	v_add_co_u32_e32 v16, vcc, s88, v16
	s_addc_u32 s55, s55, 0
	v_addc_co_u32_e32 v17, vcc, v17, v20, vcc
	v_pk_mov_b32 v[20:21], s[18:19], s[18:19] op_sel:[0,1]
	v_cmp_ge_i64_e32 vcc, s[54:55], v[20:21]
	s_cbranch_vccnz .LBB27_29
.LBB27_34:                              ;   Parent Loop BB27_3 Depth=1
                                        ;     Parent Loop BB27_30 Depth=2
                                        ; =>    This Loop Header: Depth=3
                                        ;         Child Loop BB27_38 Depth 4
                                        ;           Child Loop BB27_41 Depth 5
	v_mov_b32_e32 v36, 0
	s_and_saveexec_b64 s[56:57], s[4:5]
	s_cbranch_execz .LBB27_33
; %bb.35:                               ;   in Loop: Header=BB27_34 Depth=3
	s_mov_b64 s[58:59], 0
	v_mov_b32_e32 v36, 0
	v_pk_mov_b32 v[20:21], v[16:17], v[16:17] op_sel:[0,1]
	v_pk_mov_b32 v[22:23], v[18:19], v[18:19] op_sel:[0,1]
	;; [unrolled: 1-line block ×3, first 2 shown]
	s_branch .LBB27_38
.LBB27_36:                              ;   in Loop: Header=BB27_38 Depth=4
	s_or_b64 exec, exec, s[62:63]
.LBB27_37:                              ;   in Loop: Header=BB27_38 Depth=4
	s_or_b64 exec, exec, s[60:61]
	v_add_co_u32_e32 v24, vcc, 1, v24
	v_addc_co_u32_e32 v25, vcc, 0, v25, vcc
	v_mov_b32_e32 v26, s43
	v_add_co_u32_e32 v22, vcc, s42, v22
	v_addc_co_u32_e32 v23, vcc, v23, v26, vcc
	v_cmp_ge_i64_e32 vcc, v[24:25], v[8:9]
	v_mov_b32_e32 v26, s49
	s_or_b64 s[58:59], vcc, s[58:59]
	v_add_co_u32_e32 v20, vcc, s48, v20
	v_addc_co_u32_e32 v21, vcc, v21, v26, vcc
	s_andn2_b64 exec, exec, s[58:59]
	s_cbranch_execz .LBB27_32
.LBB27_38:                              ;   Parent Loop BB27_3 Depth=1
                                        ;     Parent Loop BB27_30 Depth=2
                                        ;       Parent Loop BB27_34 Depth=3
                                        ; =>      This Loop Header: Depth=4
                                        ;           Child Loop BB27_41 Depth 5
	s_and_saveexec_b64 s[60:61], s[6:7]
	s_cbranch_execz .LBB27_37
; %bb.39:                               ;   in Loop: Header=BB27_38 Depth=4
	s_mov_b64 s[62:63], 0
	v_pk_mov_b32 v[26:27], v[20:21], v[20:21] op_sel:[0,1]
	v_pk_mov_b32 v[28:29], v[22:23], v[22:23] op_sel:[0,1]
	;; [unrolled: 1-line block ×3, first 2 shown]
	s_branch .LBB27_41
.LBB27_40:                              ;   in Loop: Header=BB27_41 Depth=5
	s_or_b64 exec, exec, s[64:65]
	v_add_co_u32_e32 v30, vcc, 1, v30
	v_addc_co_u32_e32 v31, vcc, 0, v31, vcc
	v_add_co_u32_e32 v28, vcc, 8, v28
	v_addc_co_u32_e32 v29, vcc, 0, v29, vcc
	v_cmp_ge_i64_e32 vcc, v[30:31], v[10:11]
	s_or_b64 s[62:63], vcc, s[62:63]
	v_add_co_u32_e32 v26, vcc, 2, v26
	v_addc_co_u32_e32 v27, vcc, 0, v27, vcc
	s_andn2_b64 exec, exec, s[62:63]
	s_cbranch_execz .LBB27_36
.LBB27_41:                              ;   Parent Loop BB27_3 Depth=1
                                        ;     Parent Loop BB27_30 Depth=2
                                        ;       Parent Loop BB27_34 Depth=3
                                        ;         Parent Loop BB27_38 Depth=4
                                        ; =>        This Inner Loop Header: Depth=5
	global_load_dwordx2 v[38:39], v[28:29], off
	s_waitcnt vmcnt(0)
	v_cmp_eq_u64_e32 vcc, v[38:39], v[0:1]
	s_and_saveexec_b64 s[64:65], vcc
	s_cbranch_execz .LBB27_40
; %bb.42:                               ;   in Loop: Header=BB27_41 Depth=5
	global_load_ushort v37, v[26:27], off
	s_waitcnt vmcnt(0)
	v_lshlrev_b32_e32 v37, 16, v37
	v_add_f32_e32 v36, v36, v37
	s_branch .LBB27_40
.LBB27_43:
	s_endpgm
	.section	.rodata,"a",@progbits
	.p2align	6, 0x0
	.amdhsa_kernel _ZN2at6native12_GLOBAL__N_122max_pool_backward_nchwIN3c108BFloat16EflEEvPKT_PKlT1_SA_SA_SA_SA_SA_iiiiiiiiPS5_
		.amdhsa_group_segment_fixed_size 0
		.amdhsa_private_segment_fixed_size 0
		.amdhsa_kernarg_size 360
		.amdhsa_user_sgpr_count 6
		.amdhsa_user_sgpr_private_segment_buffer 1
		.amdhsa_user_sgpr_dispatch_ptr 0
		.amdhsa_user_sgpr_queue_ptr 0
		.amdhsa_user_sgpr_kernarg_segment_ptr 1
		.amdhsa_user_sgpr_dispatch_id 0
		.amdhsa_user_sgpr_flat_scratch_init 0
		.amdhsa_user_sgpr_kernarg_preload_length 0
		.amdhsa_user_sgpr_kernarg_preload_offset 0
		.amdhsa_user_sgpr_private_segment_size 0
		.amdhsa_uses_dynamic_stack 0
		.amdhsa_system_sgpr_private_segment_wavefront_offset 0
		.amdhsa_system_sgpr_workgroup_id_x 1
		.amdhsa_system_sgpr_workgroup_id_y 1
		.amdhsa_system_sgpr_workgroup_id_z 1
		.amdhsa_system_sgpr_workgroup_info 0
		.amdhsa_system_vgpr_workitem_id 0
		.amdhsa_next_free_vgpr 40
		.amdhsa_next_free_sgpr 89
		.amdhsa_accum_offset 40
		.amdhsa_reserve_vcc 1
		.amdhsa_reserve_flat_scratch 0
		.amdhsa_float_round_mode_32 0
		.amdhsa_float_round_mode_16_64 0
		.amdhsa_float_denorm_mode_32 3
		.amdhsa_float_denorm_mode_16_64 3
		.amdhsa_dx10_clamp 1
		.amdhsa_ieee_mode 1
		.amdhsa_fp16_overflow 0
		.amdhsa_tg_split 0
		.amdhsa_exception_fp_ieee_invalid_op 0
		.amdhsa_exception_fp_denorm_src 0
		.amdhsa_exception_fp_ieee_div_zero 0
		.amdhsa_exception_fp_ieee_overflow 0
		.amdhsa_exception_fp_ieee_underflow 0
		.amdhsa_exception_fp_ieee_inexact 0
		.amdhsa_exception_int_div_zero 0
	.end_amdhsa_kernel
	.section	.text._ZN2at6native12_GLOBAL__N_122max_pool_backward_nchwIN3c108BFloat16EflEEvPKT_PKlT1_SA_SA_SA_SA_SA_iiiiiiiiPS5_,"axG",@progbits,_ZN2at6native12_GLOBAL__N_122max_pool_backward_nchwIN3c108BFloat16EflEEvPKT_PKlT1_SA_SA_SA_SA_SA_iiiiiiiiPS5_,comdat
.Lfunc_end27:
	.size	_ZN2at6native12_GLOBAL__N_122max_pool_backward_nchwIN3c108BFloat16EflEEvPKT_PKlT1_SA_SA_SA_SA_SA_iiiiiiiiPS5_, .Lfunc_end27-_ZN2at6native12_GLOBAL__N_122max_pool_backward_nchwIN3c108BFloat16EflEEvPKT_PKlT1_SA_SA_SA_SA_SA_iiiiiiiiPS5_
                                        ; -- End function
	.section	.AMDGPU.csdata,"",@progbits
; Kernel info:
; codeLenInByte = 5364
; NumSgprs: 93
; NumVgprs: 40
; NumAgprs: 0
; TotalNumVgprs: 40
; ScratchSize: 0
; MemoryBound: 0
; FloatMode: 240
; IeeeMode: 1
; LDSByteSize: 0 bytes/workgroup (compile time only)
; SGPRBlocks: 11
; VGPRBlocks: 4
; NumSGPRsForWavesPerEU: 93
; NumVGPRsForWavesPerEU: 40
; AccumOffset: 40
; Occupancy: 8
; WaveLimiterHint : 0
; COMPUTE_PGM_RSRC2:SCRATCH_EN: 0
; COMPUTE_PGM_RSRC2:USER_SGPR: 6
; COMPUTE_PGM_RSRC2:TRAP_HANDLER: 0
; COMPUTE_PGM_RSRC2:TGID_X_EN: 1
; COMPUTE_PGM_RSRC2:TGID_Y_EN: 1
; COMPUTE_PGM_RSRC2:TGID_Z_EN: 1
; COMPUTE_PGM_RSRC2:TIDIG_COMP_CNT: 0
; COMPUTE_PGM_RSRC3_GFX90A:ACCUM_OFFSET: 9
; COMPUTE_PGM_RSRC3_GFX90A:TG_SPLIT: 0
	.text
	.p2alignl 6, 3212836864
	.fill 256, 4, 3212836864
	.type	__hip_cuid_8a6f1752d62bdd0,@object ; @__hip_cuid_8a6f1752d62bdd0
	.section	.bss,"aw",@nobits
	.globl	__hip_cuid_8a6f1752d62bdd0
__hip_cuid_8a6f1752d62bdd0:
	.byte	0                               ; 0x0
	.size	__hip_cuid_8a6f1752d62bdd0, 1

	.ident	"AMD clang version 19.0.0git (https://github.com/RadeonOpenCompute/llvm-project roc-6.4.0 25133 c7fe45cf4b819c5991fe208aaa96edf142730f1d)"
	.section	".note.GNU-stack","",@progbits
	.addrsig
	.addrsig_sym __hip_cuid_8a6f1752d62bdd0
	.amdgpu_metadata
---
amdhsa.kernels:
  - .agpr_count:     0
    .args:
      - .address_space:  global
        .offset:         0
        .size:           8
        .value_kind:     global_buffer
      - .offset:         8
        .size:           4
        .value_kind:     by_value
      - .offset:         12
        .size:           4
        .value_kind:     by_value
      - .offset:         16
        .size:           4
        .value_kind:     by_value
      - .offset:         20
        .size:           4
        .value_kind:     by_value
      - .offset:         24
        .size:           4
        .value_kind:     by_value
      - .offset:         28
        .size:           4
        .value_kind:     by_value
      - .offset:         32
        .size:           4
        .value_kind:     by_value
      - .offset:         36
        .size:           4
        .value_kind:     by_value
      - .offset:         40
        .size:           4
        .value_kind:     by_value
      - .offset:         44
        .size:           4
        .value_kind:     by_value
      - .offset:         48
        .size:           4
        .value_kind:     by_value
      - .offset:         52
        .size:           4
        .value_kind:     by_value
      - .offset:         56
        .size:           4
        .value_kind:     by_value
      - .offset:         60
        .size:           4
        .value_kind:     by_value
      - .offset:         64
        .size:           4
        .value_kind:     by_value
      - .offset:         68
        .size:           4
        .value_kind:     by_value
      - .offset:         72
        .size:           4
        .value_kind:     by_value
      - .offset:         76
        .size:           4
        .value_kind:     by_value
      - .offset:         80
        .size:           4
        .value_kind:     by_value
      - .offset:         84
        .size:           4
        .value_kind:     by_value
      - .address_space:  global
        .offset:         88
        .size:           8
        .value_kind:     global_buffer
      - .address_space:  global
        .offset:         96
        .size:           8
        .value_kind:     global_buffer
      - .offset:         104
        .size:           4
        .value_kind:     hidden_block_count_x
      - .offset:         108
        .size:           4
        .value_kind:     hidden_block_count_y
      - .offset:         112
        .size:           4
        .value_kind:     hidden_block_count_z
      - .offset:         116
        .size:           2
        .value_kind:     hidden_group_size_x
      - .offset:         118
        .size:           2
        .value_kind:     hidden_group_size_y
      - .offset:         120
        .size:           2
        .value_kind:     hidden_group_size_z
      - .offset:         122
        .size:           2
        .value_kind:     hidden_remainder_x
      - .offset:         124
        .size:           2
        .value_kind:     hidden_remainder_y
      - .offset:         126
        .size:           2
        .value_kind:     hidden_remainder_z
      - .offset:         144
        .size:           8
        .value_kind:     hidden_global_offset_x
      - .offset:         152
        .size:           8
        .value_kind:     hidden_global_offset_y
      - .offset:         160
        .size:           8
        .value_kind:     hidden_global_offset_z
      - .offset:         168
        .size:           2
        .value_kind:     hidden_grid_dims
      - .offset:         224
        .size:           4
        .value_kind:     hidden_dynamic_lds_size
    .group_segment_fixed_size: 0
    .kernarg_segment_align: 8
    .kernarg_segment_size: 360
    .language:       OpenCL C
    .language_version:
      - 2
      - 0
    .max_flat_workgroup_size: 256
    .name:           _ZN2at6native12_GLOBAL__N_121max_pool_forward_nhwcIdiEEvPKT_iT0_S6_S6_S6_S6_iiiiiiiiS6_S6_S6_S6_iiPS3_Pl
    .private_segment_fixed_size: 0
    .sgpr_count:     73
    .sgpr_spill_count: 0
    .symbol:         _ZN2at6native12_GLOBAL__N_121max_pool_forward_nhwcIdiEEvPKT_iT0_S6_S6_S6_S6_iiiiiiiiS6_S6_S6_S6_iiPS3_Pl.kd
    .uniform_work_group_size: 1
    .uses_dynamic_stack: false
    .vgpr_count:     52
    .vgpr_spill_count: 0
    .wavefront_size: 64
  - .agpr_count:     0
    .args:
      - .address_space:  global
        .offset:         0
        .size:           8
        .value_kind:     global_buffer
      - .offset:         8
        .size:           4
        .value_kind:     by_value
      - .offset:         16
        .size:           8
        .value_kind:     by_value
      - .offset:         24
        .size:           8
        .value_kind:     by_value
      - .offset:         32
        .size:           8
        .value_kind:     by_value
      - .offset:         40
        .size:           8
        .value_kind:     by_value
      - .offset:         48
        .size:           8
        .value_kind:     by_value
      - .offset:         56
        .size:           4
        .value_kind:     by_value
      - .offset:         60
        .size:           4
        .value_kind:     by_value
      - .offset:         64
        .size:           4
        .value_kind:     by_value
      - .offset:         68
        .size:           4
        .value_kind:     by_value
      - .offset:         72
        .size:           4
        .value_kind:     by_value
      - .offset:         76
        .size:           4
        .value_kind:     by_value
      - .offset:         80
        .size:           4
        .value_kind:     by_value
      - .offset:         84
        .size:           4
        .value_kind:     by_value
      - .offset:         88
        .size:           8
        .value_kind:     by_value
      - .offset:         96
        .size:           8
        .value_kind:     by_value
      - .offset:         104
        .size:           8
        .value_kind:     by_value
      - .offset:         112
        .size:           8
        .value_kind:     by_value
      - .offset:         120
        .size:           4
        .value_kind:     by_value
      - .offset:         124
        .size:           4
        .value_kind:     by_value
      - .address_space:  global
        .offset:         128
        .size:           8
        .value_kind:     global_buffer
      - .address_space:  global
        .offset:         136
        .size:           8
        .value_kind:     global_buffer
      - .offset:         144
        .size:           4
        .value_kind:     hidden_block_count_x
      - .offset:         148
        .size:           4
        .value_kind:     hidden_block_count_y
      - .offset:         152
        .size:           4
        .value_kind:     hidden_block_count_z
      - .offset:         156
        .size:           2
        .value_kind:     hidden_group_size_x
      - .offset:         158
        .size:           2
        .value_kind:     hidden_group_size_y
      - .offset:         160
        .size:           2
        .value_kind:     hidden_group_size_z
      - .offset:         162
        .size:           2
        .value_kind:     hidden_remainder_x
      - .offset:         164
        .size:           2
        .value_kind:     hidden_remainder_y
      - .offset:         166
        .size:           2
        .value_kind:     hidden_remainder_z
      - .offset:         184
        .size:           8
        .value_kind:     hidden_global_offset_x
      - .offset:         192
        .size:           8
        .value_kind:     hidden_global_offset_y
      - .offset:         200
        .size:           8
        .value_kind:     hidden_global_offset_z
      - .offset:         208
        .size:           2
        .value_kind:     hidden_grid_dims
      - .offset:         264
        .size:           4
        .value_kind:     hidden_dynamic_lds_size
    .group_segment_fixed_size: 0
    .kernarg_segment_align: 8
    .kernarg_segment_size: 400
    .language:       OpenCL C
    .language_version:
      - 2
      - 0
    .max_flat_workgroup_size: 256
    .name:           _ZN2at6native12_GLOBAL__N_121max_pool_forward_nhwcIdlEEvPKT_iT0_S6_S6_S6_S6_iiiiiiiiS6_S6_S6_S6_iiPS3_Pl
    .private_segment_fixed_size: 0
    .sgpr_count:     84
    .sgpr_spill_count: 0
    .symbol:         _ZN2at6native12_GLOBAL__N_121max_pool_forward_nhwcIdlEEvPKT_iT0_S6_S6_S6_S6_iiiiiiiiS6_S6_S6_S6_iiPS3_Pl.kd
    .uniform_work_group_size: 1
    .uses_dynamic_stack: false
    .vgpr_count:     67
    .vgpr_spill_count: 0
    .wavefront_size: 64
  - .agpr_count:     0
    .args:
      - .offset:         0
        .size:           4
        .value_kind:     by_value
      - .address_space:  global
        .offset:         8
        .size:           8
        .value_kind:     global_buffer
      - .offset:         16
        .size:           8
        .value_kind:     by_value
      - .offset:         24
        .size:           8
        .value_kind:     by_value
      - .offset:         32
        .size:           8
        .value_kind:     by_value
      - .offset:         40
        .size:           4
        .value_kind:     by_value
      - .offset:         44
        .size:           4
        .value_kind:     by_value
      - .offset:         48
        .size:           4
        .value_kind:     by_value
      - .offset:         52
        .size:           4
        .value_kind:     by_value
      - .offset:         56
        .size:           4
        .value_kind:     by_value
      - .offset:         60
        .size:           4
        .value_kind:     by_value
      - .offset:         64
        .size:           4
        .value_kind:     by_value
      - .offset:         68
        .size:           4
        .value_kind:     by_value
      - .offset:         72
        .size:           4
        .value_kind:     by_value
      - .offset:         76
        .size:           4
        .value_kind:     by_value
      - .address_space:  global
        .offset:         80
        .size:           8
        .value_kind:     global_buffer
      - .address_space:  global
        .offset:         88
        .size:           8
        .value_kind:     global_buffer
      - .offset:         96
        .size:           4
        .value_kind:     hidden_block_count_x
      - .offset:         100
        .size:           4
        .value_kind:     hidden_block_count_y
      - .offset:         104
        .size:           4
        .value_kind:     hidden_block_count_z
      - .offset:         108
        .size:           2
        .value_kind:     hidden_group_size_x
      - .offset:         110
        .size:           2
        .value_kind:     hidden_group_size_y
      - .offset:         112
        .size:           2
        .value_kind:     hidden_group_size_z
      - .offset:         114
        .size:           2
        .value_kind:     hidden_remainder_x
      - .offset:         116
        .size:           2
        .value_kind:     hidden_remainder_y
      - .offset:         118
        .size:           2
        .value_kind:     hidden_remainder_z
      - .offset:         136
        .size:           8
        .value_kind:     hidden_global_offset_x
      - .offset:         144
        .size:           8
        .value_kind:     hidden_global_offset_y
      - .offset:         152
        .size:           8
        .value_kind:     hidden_global_offset_z
      - .offset:         160
        .size:           2
        .value_kind:     hidden_grid_dims
    .group_segment_fixed_size: 0
    .kernarg_segment_align: 8
    .kernarg_segment_size: 352
    .language:       OpenCL C
    .language_version:
      - 2
      - 0
    .max_flat_workgroup_size: 1024
    .name:           _ZN2at6native12_GLOBAL__N_121max_pool_forward_nchwIdiEEvT0_PKT_llliiiiiiiiiiPS4_Pl
    .private_segment_fixed_size: 0
    .sgpr_count:     62
    .sgpr_spill_count: 0
    .symbol:         _ZN2at6native12_GLOBAL__N_121max_pool_forward_nchwIdiEEvT0_PKT_llliiiiiiiiiiPS4_Pl.kd
    .uniform_work_group_size: 1
    .uses_dynamic_stack: false
    .vgpr_count:     24
    .vgpr_spill_count: 0
    .wavefront_size: 64
  - .agpr_count:     0
    .args:
      - .offset:         0
        .size:           8
        .value_kind:     by_value
      - .address_space:  global
        .offset:         8
        .size:           8
        .value_kind:     global_buffer
      - .offset:         16
        .size:           8
        .value_kind:     by_value
      - .offset:         24
        .size:           8
        .value_kind:     by_value
      - .offset:         32
        .size:           8
        .value_kind:     by_value
      - .offset:         40
        .size:           4
        .value_kind:     by_value
      - .offset:         44
        .size:           4
        .value_kind:     by_value
      - .offset:         48
        .size:           4
        .value_kind:     by_value
      - .offset:         52
        .size:           4
        .value_kind:     by_value
      - .offset:         56
        .size:           4
        .value_kind:     by_value
      - .offset:         60
        .size:           4
        .value_kind:     by_value
      - .offset:         64
        .size:           4
        .value_kind:     by_value
      - .offset:         68
        .size:           4
        .value_kind:     by_value
      - .offset:         72
        .size:           4
        .value_kind:     by_value
      - .offset:         76
        .size:           4
        .value_kind:     by_value
      - .address_space:  global
        .offset:         80
        .size:           8
        .value_kind:     global_buffer
      - .address_space:  global
        .offset:         88
        .size:           8
        .value_kind:     global_buffer
      - .offset:         96
        .size:           4
        .value_kind:     hidden_block_count_x
      - .offset:         100
        .size:           4
        .value_kind:     hidden_block_count_y
      - .offset:         104
        .size:           4
        .value_kind:     hidden_block_count_z
      - .offset:         108
        .size:           2
        .value_kind:     hidden_group_size_x
      - .offset:         110
        .size:           2
        .value_kind:     hidden_group_size_y
      - .offset:         112
        .size:           2
        .value_kind:     hidden_group_size_z
      - .offset:         114
        .size:           2
        .value_kind:     hidden_remainder_x
      - .offset:         116
        .size:           2
        .value_kind:     hidden_remainder_y
      - .offset:         118
        .size:           2
        .value_kind:     hidden_remainder_z
      - .offset:         136
        .size:           8
        .value_kind:     hidden_global_offset_x
      - .offset:         144
        .size:           8
        .value_kind:     hidden_global_offset_y
      - .offset:         152
        .size:           8
        .value_kind:     hidden_global_offset_z
      - .offset:         160
        .size:           2
        .value_kind:     hidden_grid_dims
    .group_segment_fixed_size: 0
    .kernarg_segment_align: 8
    .kernarg_segment_size: 352
    .language:       OpenCL C
    .language_version:
      - 2
      - 0
    .max_flat_workgroup_size: 1024
    .name:           _ZN2at6native12_GLOBAL__N_121max_pool_forward_nchwIdlEEvT0_PKT_llliiiiiiiiiiPS4_Pl
    .private_segment_fixed_size: 0
    .sgpr_count:     63
    .sgpr_spill_count: 0
    .symbol:         _ZN2at6native12_GLOBAL__N_121max_pool_forward_nchwIdlEEvT0_PKT_llliiiiiiiiiiPS4_Pl.kd
    .uniform_work_group_size: 1
    .uses_dynamic_stack: false
    .vgpr_count:     25
    .vgpr_spill_count: 0
    .wavefront_size: 64
  - .agpr_count:     0
    .args:
      - .address_space:  global
        .offset:         0
        .size:           8
        .value_kind:     global_buffer
      - .offset:         8
        .size:           4
        .value_kind:     by_value
      - .offset:         12
        .size:           4
        .value_kind:     by_value
      - .offset:         16
        .size:           4
        .value_kind:     by_value
      - .offset:         20
        .size:           4
        .value_kind:     by_value
      - .offset:         24
        .size:           4
        .value_kind:     by_value
      - .offset:         28
        .size:           4
        .value_kind:     by_value
      - .offset:         32
        .size:           4
        .value_kind:     by_value
      - .offset:         36
        .size:           4
        .value_kind:     by_value
      - .offset:         40
        .size:           4
        .value_kind:     by_value
      - .offset:         44
        .size:           4
        .value_kind:     by_value
      - .offset:         48
        .size:           4
        .value_kind:     by_value
      - .offset:         52
        .size:           4
        .value_kind:     by_value
      - .offset:         56
        .size:           4
        .value_kind:     by_value
      - .offset:         60
        .size:           4
        .value_kind:     by_value
      - .offset:         64
        .size:           4
        .value_kind:     by_value
      - .offset:         68
        .size:           4
        .value_kind:     by_value
      - .offset:         72
        .size:           4
        .value_kind:     by_value
      - .offset:         76
        .size:           4
        .value_kind:     by_value
      - .offset:         80
        .size:           4
        .value_kind:     by_value
      - .offset:         84
        .size:           4
        .value_kind:     by_value
      - .address_space:  global
        .offset:         88
        .size:           8
        .value_kind:     global_buffer
      - .address_space:  global
        .offset:         96
        .size:           8
        .value_kind:     global_buffer
      - .offset:         104
        .size:           4
        .value_kind:     hidden_block_count_x
      - .offset:         108
        .size:           4
        .value_kind:     hidden_block_count_y
      - .offset:         112
        .size:           4
        .value_kind:     hidden_block_count_z
      - .offset:         116
        .size:           2
        .value_kind:     hidden_group_size_x
      - .offset:         118
        .size:           2
        .value_kind:     hidden_group_size_y
      - .offset:         120
        .size:           2
        .value_kind:     hidden_group_size_z
      - .offset:         122
        .size:           2
        .value_kind:     hidden_remainder_x
      - .offset:         124
        .size:           2
        .value_kind:     hidden_remainder_y
      - .offset:         126
        .size:           2
        .value_kind:     hidden_remainder_z
      - .offset:         144
        .size:           8
        .value_kind:     hidden_global_offset_x
      - .offset:         152
        .size:           8
        .value_kind:     hidden_global_offset_y
      - .offset:         160
        .size:           8
        .value_kind:     hidden_global_offset_z
      - .offset:         168
        .size:           2
        .value_kind:     hidden_grid_dims
      - .offset:         224
        .size:           4
        .value_kind:     hidden_dynamic_lds_size
    .group_segment_fixed_size: 0
    .kernarg_segment_align: 8
    .kernarg_segment_size: 360
    .language:       OpenCL C
    .language_version:
      - 2
      - 0
    .max_flat_workgroup_size: 256
    .name:           _ZN2at6native12_GLOBAL__N_121max_pool_forward_nhwcIfiEEvPKT_iT0_S6_S6_S6_S6_iiiiiiiiS6_S6_S6_S6_iiPS3_Pl
    .private_segment_fixed_size: 0
    .sgpr_count:     70
    .sgpr_spill_count: 0
    .symbol:         _ZN2at6native12_GLOBAL__N_121max_pool_forward_nhwcIfiEEvPKT_iT0_S6_S6_S6_S6_iiiiiiiiS6_S6_S6_S6_iiPS3_Pl.kd
    .uniform_work_group_size: 1
    .uses_dynamic_stack: false
    .vgpr_count:     48
    .vgpr_spill_count: 0
    .wavefront_size: 64
  - .agpr_count:     0
    .args:
      - .address_space:  global
        .offset:         0
        .size:           8
        .value_kind:     global_buffer
      - .offset:         8
        .size:           4
        .value_kind:     by_value
      - .offset:         16
        .size:           8
        .value_kind:     by_value
      - .offset:         24
        .size:           8
        .value_kind:     by_value
      - .offset:         32
        .size:           8
        .value_kind:     by_value
      - .offset:         40
        .size:           8
        .value_kind:     by_value
      - .offset:         48
        .size:           8
        .value_kind:     by_value
      - .offset:         56
        .size:           4
        .value_kind:     by_value
      - .offset:         60
        .size:           4
        .value_kind:     by_value
      - .offset:         64
        .size:           4
        .value_kind:     by_value
      - .offset:         68
        .size:           4
        .value_kind:     by_value
      - .offset:         72
        .size:           4
        .value_kind:     by_value
      - .offset:         76
        .size:           4
        .value_kind:     by_value
      - .offset:         80
        .size:           4
        .value_kind:     by_value
      - .offset:         84
        .size:           4
        .value_kind:     by_value
      - .offset:         88
        .size:           8
        .value_kind:     by_value
      - .offset:         96
        .size:           8
        .value_kind:     by_value
      - .offset:         104
        .size:           8
        .value_kind:     by_value
      - .offset:         112
        .size:           8
        .value_kind:     by_value
      - .offset:         120
        .size:           4
        .value_kind:     by_value
      - .offset:         124
        .size:           4
        .value_kind:     by_value
      - .address_space:  global
        .offset:         128
        .size:           8
        .value_kind:     global_buffer
      - .address_space:  global
        .offset:         136
        .size:           8
        .value_kind:     global_buffer
      - .offset:         144
        .size:           4
        .value_kind:     hidden_block_count_x
      - .offset:         148
        .size:           4
        .value_kind:     hidden_block_count_y
      - .offset:         152
        .size:           4
        .value_kind:     hidden_block_count_z
      - .offset:         156
        .size:           2
        .value_kind:     hidden_group_size_x
      - .offset:         158
        .size:           2
        .value_kind:     hidden_group_size_y
      - .offset:         160
        .size:           2
        .value_kind:     hidden_group_size_z
      - .offset:         162
        .size:           2
        .value_kind:     hidden_remainder_x
      - .offset:         164
        .size:           2
        .value_kind:     hidden_remainder_y
      - .offset:         166
        .size:           2
        .value_kind:     hidden_remainder_z
      - .offset:         184
        .size:           8
        .value_kind:     hidden_global_offset_x
      - .offset:         192
        .size:           8
        .value_kind:     hidden_global_offset_y
      - .offset:         200
        .size:           8
        .value_kind:     hidden_global_offset_z
      - .offset:         208
        .size:           2
        .value_kind:     hidden_grid_dims
      - .offset:         264
        .size:           4
        .value_kind:     hidden_dynamic_lds_size
    .group_segment_fixed_size: 0
    .kernarg_segment_align: 8
    .kernarg_segment_size: 400
    .language:       OpenCL C
    .language_version:
      - 2
      - 0
    .max_flat_workgroup_size: 256
    .name:           _ZN2at6native12_GLOBAL__N_121max_pool_forward_nhwcIflEEvPKT_iT0_S6_S6_S6_S6_iiiiiiiiS6_S6_S6_S6_iiPS3_Pl
    .private_segment_fixed_size: 0
    .sgpr_count:     85
    .sgpr_spill_count: 0
    .symbol:         _ZN2at6native12_GLOBAL__N_121max_pool_forward_nhwcIflEEvPKT_iT0_S6_S6_S6_S6_iiiiiiiiS6_S6_S6_S6_iiPS3_Pl.kd
    .uniform_work_group_size: 1
    .uses_dynamic_stack: false
    .vgpr_count:     62
    .vgpr_spill_count: 0
    .wavefront_size: 64
  - .agpr_count:     0
    .args:
      - .offset:         0
        .size:           4
        .value_kind:     by_value
      - .address_space:  global
        .offset:         8
        .size:           8
        .value_kind:     global_buffer
      - .offset:         16
        .size:           8
        .value_kind:     by_value
      - .offset:         24
        .size:           8
        .value_kind:     by_value
      - .offset:         32
        .size:           8
        .value_kind:     by_value
      - .offset:         40
        .size:           4
        .value_kind:     by_value
      - .offset:         44
        .size:           4
        .value_kind:     by_value
      - .offset:         48
        .size:           4
        .value_kind:     by_value
      - .offset:         52
        .size:           4
        .value_kind:     by_value
      - .offset:         56
        .size:           4
        .value_kind:     by_value
      - .offset:         60
        .size:           4
        .value_kind:     by_value
      - .offset:         64
        .size:           4
        .value_kind:     by_value
      - .offset:         68
        .size:           4
        .value_kind:     by_value
      - .offset:         72
        .size:           4
        .value_kind:     by_value
      - .offset:         76
        .size:           4
        .value_kind:     by_value
      - .address_space:  global
        .offset:         80
        .size:           8
        .value_kind:     global_buffer
      - .address_space:  global
        .offset:         88
        .size:           8
        .value_kind:     global_buffer
      - .offset:         96
        .size:           4
        .value_kind:     hidden_block_count_x
      - .offset:         100
        .size:           4
        .value_kind:     hidden_block_count_y
      - .offset:         104
        .size:           4
        .value_kind:     hidden_block_count_z
      - .offset:         108
        .size:           2
        .value_kind:     hidden_group_size_x
      - .offset:         110
        .size:           2
        .value_kind:     hidden_group_size_y
      - .offset:         112
        .size:           2
        .value_kind:     hidden_group_size_z
      - .offset:         114
        .size:           2
        .value_kind:     hidden_remainder_x
      - .offset:         116
        .size:           2
        .value_kind:     hidden_remainder_y
      - .offset:         118
        .size:           2
        .value_kind:     hidden_remainder_z
      - .offset:         136
        .size:           8
        .value_kind:     hidden_global_offset_x
      - .offset:         144
        .size:           8
        .value_kind:     hidden_global_offset_y
      - .offset:         152
        .size:           8
        .value_kind:     hidden_global_offset_z
      - .offset:         160
        .size:           2
        .value_kind:     hidden_grid_dims
    .group_segment_fixed_size: 0
    .kernarg_segment_align: 8
    .kernarg_segment_size: 352
    .language:       OpenCL C
    .language_version:
      - 2
      - 0
    .max_flat_workgroup_size: 1024
    .name:           _ZN2at6native12_GLOBAL__N_121max_pool_forward_nchwIfiEEvT0_PKT_llliiiiiiiiiiPS4_Pl
    .private_segment_fixed_size: 0
    .sgpr_count:     62
    .sgpr_spill_count: 0
    .symbol:         _ZN2at6native12_GLOBAL__N_121max_pool_forward_nchwIfiEEvT0_PKT_llliiiiiiiiiiPS4_Pl.kd
    .uniform_work_group_size: 1
    .uses_dynamic_stack: false
    .vgpr_count:     24
    .vgpr_spill_count: 0
    .wavefront_size: 64
  - .agpr_count:     0
    .args:
      - .offset:         0
        .size:           8
        .value_kind:     by_value
      - .address_space:  global
        .offset:         8
        .size:           8
        .value_kind:     global_buffer
      - .offset:         16
        .size:           8
        .value_kind:     by_value
      - .offset:         24
        .size:           8
        .value_kind:     by_value
      - .offset:         32
        .size:           8
        .value_kind:     by_value
      - .offset:         40
        .size:           4
        .value_kind:     by_value
      - .offset:         44
        .size:           4
        .value_kind:     by_value
      - .offset:         48
        .size:           4
        .value_kind:     by_value
      - .offset:         52
        .size:           4
        .value_kind:     by_value
      - .offset:         56
        .size:           4
        .value_kind:     by_value
      - .offset:         60
        .size:           4
        .value_kind:     by_value
      - .offset:         64
        .size:           4
        .value_kind:     by_value
      - .offset:         68
        .size:           4
        .value_kind:     by_value
      - .offset:         72
        .size:           4
        .value_kind:     by_value
      - .offset:         76
        .size:           4
        .value_kind:     by_value
      - .address_space:  global
        .offset:         80
        .size:           8
        .value_kind:     global_buffer
      - .address_space:  global
        .offset:         88
        .size:           8
        .value_kind:     global_buffer
      - .offset:         96
        .size:           4
        .value_kind:     hidden_block_count_x
      - .offset:         100
        .size:           4
        .value_kind:     hidden_block_count_y
      - .offset:         104
        .size:           4
        .value_kind:     hidden_block_count_z
      - .offset:         108
        .size:           2
        .value_kind:     hidden_group_size_x
      - .offset:         110
        .size:           2
        .value_kind:     hidden_group_size_y
      - .offset:         112
        .size:           2
        .value_kind:     hidden_group_size_z
      - .offset:         114
        .size:           2
        .value_kind:     hidden_remainder_x
      - .offset:         116
        .size:           2
        .value_kind:     hidden_remainder_y
      - .offset:         118
        .size:           2
        .value_kind:     hidden_remainder_z
      - .offset:         136
        .size:           8
        .value_kind:     hidden_global_offset_x
      - .offset:         144
        .size:           8
        .value_kind:     hidden_global_offset_y
      - .offset:         152
        .size:           8
        .value_kind:     hidden_global_offset_z
      - .offset:         160
        .size:           2
        .value_kind:     hidden_grid_dims
    .group_segment_fixed_size: 0
    .kernarg_segment_align: 8
    .kernarg_segment_size: 352
    .language:       OpenCL C
    .language_version:
      - 2
      - 0
    .max_flat_workgroup_size: 1024
    .name:           _ZN2at6native12_GLOBAL__N_121max_pool_forward_nchwIflEEvT0_PKT_llliiiiiiiiiiPS4_Pl
    .private_segment_fixed_size: 0
    .sgpr_count:     63
    .sgpr_spill_count: 0
    .symbol:         _ZN2at6native12_GLOBAL__N_121max_pool_forward_nchwIflEEvT0_PKT_llliiiiiiiiiiPS4_Pl.kd
    .uniform_work_group_size: 1
    .uses_dynamic_stack: false
    .vgpr_count:     25
    .vgpr_spill_count: 0
    .wavefront_size: 64
  - .agpr_count:     0
    .args:
      - .address_space:  global
        .offset:         0
        .size:           8
        .value_kind:     global_buffer
      - .offset:         8
        .size:           4
        .value_kind:     by_value
      - .offset:         12
        .size:           4
        .value_kind:     by_value
      - .offset:         16
        .size:           4
        .value_kind:     by_value
      - .offset:         20
        .size:           4
        .value_kind:     by_value
      - .offset:         24
        .size:           4
        .value_kind:     by_value
      - .offset:         28
        .size:           4
        .value_kind:     by_value
      - .offset:         32
        .size:           4
        .value_kind:     by_value
      - .offset:         36
        .size:           4
        .value_kind:     by_value
      - .offset:         40
        .size:           4
        .value_kind:     by_value
      - .offset:         44
        .size:           4
        .value_kind:     by_value
      - .offset:         48
        .size:           4
        .value_kind:     by_value
      - .offset:         52
        .size:           4
        .value_kind:     by_value
      - .offset:         56
        .size:           4
        .value_kind:     by_value
      - .offset:         60
        .size:           4
        .value_kind:     by_value
      - .offset:         64
        .size:           4
        .value_kind:     by_value
      - .offset:         68
        .size:           4
        .value_kind:     by_value
      - .offset:         72
        .size:           4
        .value_kind:     by_value
      - .offset:         76
        .size:           4
        .value_kind:     by_value
      - .offset:         80
        .size:           4
        .value_kind:     by_value
      - .offset:         84
        .size:           4
        .value_kind:     by_value
      - .address_space:  global
        .offset:         88
        .size:           8
        .value_kind:     global_buffer
      - .address_space:  global
        .offset:         96
        .size:           8
        .value_kind:     global_buffer
      - .offset:         104
        .size:           4
        .value_kind:     hidden_block_count_x
      - .offset:         108
        .size:           4
        .value_kind:     hidden_block_count_y
      - .offset:         112
        .size:           4
        .value_kind:     hidden_block_count_z
      - .offset:         116
        .size:           2
        .value_kind:     hidden_group_size_x
      - .offset:         118
        .size:           2
        .value_kind:     hidden_group_size_y
      - .offset:         120
        .size:           2
        .value_kind:     hidden_group_size_z
      - .offset:         122
        .size:           2
        .value_kind:     hidden_remainder_x
      - .offset:         124
        .size:           2
        .value_kind:     hidden_remainder_y
      - .offset:         126
        .size:           2
        .value_kind:     hidden_remainder_z
      - .offset:         144
        .size:           8
        .value_kind:     hidden_global_offset_x
      - .offset:         152
        .size:           8
        .value_kind:     hidden_global_offset_y
      - .offset:         160
        .size:           8
        .value_kind:     hidden_global_offset_z
      - .offset:         168
        .size:           2
        .value_kind:     hidden_grid_dims
      - .offset:         224
        .size:           4
        .value_kind:     hidden_dynamic_lds_size
    .group_segment_fixed_size: 0
    .kernarg_segment_align: 8
    .kernarg_segment_size: 360
    .language:       OpenCL C
    .language_version:
      - 2
      - 0
    .max_flat_workgroup_size: 256
    .name:           _ZN2at6native12_GLOBAL__N_121max_pool_forward_nhwcIN3c104HalfEiEEvPKT_iT0_S8_S8_S8_S8_iiiiiiiiS8_S8_S8_S8_iiPS5_Pl
    .private_segment_fixed_size: 0
    .sgpr_count:     71
    .sgpr_spill_count: 0
    .symbol:         _ZN2at6native12_GLOBAL__N_121max_pool_forward_nhwcIN3c104HalfEiEEvPKT_iT0_S8_S8_S8_S8_iiiiiiiiS8_S8_S8_S8_iiPS5_Pl.kd
    .uniform_work_group_size: 1
    .uses_dynamic_stack: false
    .vgpr_count:     46
    .vgpr_spill_count: 0
    .wavefront_size: 64
  - .agpr_count:     0
    .args:
      - .address_space:  global
        .offset:         0
        .size:           8
        .value_kind:     global_buffer
      - .offset:         8
        .size:           4
        .value_kind:     by_value
      - .offset:         16
        .size:           8
        .value_kind:     by_value
      - .offset:         24
        .size:           8
        .value_kind:     by_value
      - .offset:         32
        .size:           8
        .value_kind:     by_value
      - .offset:         40
        .size:           8
        .value_kind:     by_value
      - .offset:         48
        .size:           8
        .value_kind:     by_value
      - .offset:         56
        .size:           4
        .value_kind:     by_value
      - .offset:         60
        .size:           4
        .value_kind:     by_value
      - .offset:         64
        .size:           4
        .value_kind:     by_value
      - .offset:         68
        .size:           4
        .value_kind:     by_value
      - .offset:         72
        .size:           4
        .value_kind:     by_value
      - .offset:         76
        .size:           4
        .value_kind:     by_value
      - .offset:         80
        .size:           4
        .value_kind:     by_value
      - .offset:         84
        .size:           4
        .value_kind:     by_value
      - .offset:         88
        .size:           8
        .value_kind:     by_value
      - .offset:         96
        .size:           8
        .value_kind:     by_value
      - .offset:         104
        .size:           8
        .value_kind:     by_value
      - .offset:         112
        .size:           8
        .value_kind:     by_value
      - .offset:         120
        .size:           4
        .value_kind:     by_value
      - .offset:         124
        .size:           4
        .value_kind:     by_value
      - .address_space:  global
        .offset:         128
        .size:           8
        .value_kind:     global_buffer
      - .address_space:  global
        .offset:         136
        .size:           8
        .value_kind:     global_buffer
      - .offset:         144
        .size:           4
        .value_kind:     hidden_block_count_x
      - .offset:         148
        .size:           4
        .value_kind:     hidden_block_count_y
      - .offset:         152
        .size:           4
        .value_kind:     hidden_block_count_z
      - .offset:         156
        .size:           2
        .value_kind:     hidden_group_size_x
      - .offset:         158
        .size:           2
        .value_kind:     hidden_group_size_y
      - .offset:         160
        .size:           2
        .value_kind:     hidden_group_size_z
      - .offset:         162
        .size:           2
        .value_kind:     hidden_remainder_x
      - .offset:         164
        .size:           2
        .value_kind:     hidden_remainder_y
      - .offset:         166
        .size:           2
        .value_kind:     hidden_remainder_z
      - .offset:         184
        .size:           8
        .value_kind:     hidden_global_offset_x
      - .offset:         192
        .size:           8
        .value_kind:     hidden_global_offset_y
      - .offset:         200
        .size:           8
        .value_kind:     hidden_global_offset_z
      - .offset:         208
        .size:           2
        .value_kind:     hidden_grid_dims
      - .offset:         264
        .size:           4
        .value_kind:     hidden_dynamic_lds_size
    .group_segment_fixed_size: 0
    .kernarg_segment_align: 8
    .kernarg_segment_size: 400
    .language:       OpenCL C
    .language_version:
      - 2
      - 0
    .max_flat_workgroup_size: 256
    .name:           _ZN2at6native12_GLOBAL__N_121max_pool_forward_nhwcIN3c104HalfElEEvPKT_iT0_S8_S8_S8_S8_iiiiiiiiS8_S8_S8_S8_iiPS5_Pl
    .private_segment_fixed_size: 0
    .sgpr_count:     85
    .sgpr_spill_count: 0
    .symbol:         _ZN2at6native12_GLOBAL__N_121max_pool_forward_nhwcIN3c104HalfElEEvPKT_iT0_S8_S8_S8_S8_iiiiiiiiS8_S8_S8_S8_iiPS5_Pl.kd
    .uniform_work_group_size: 1
    .uses_dynamic_stack: false
    .vgpr_count:     62
    .vgpr_spill_count: 0
    .wavefront_size: 64
  - .agpr_count:     0
    .args:
      - .offset:         0
        .size:           4
        .value_kind:     by_value
      - .address_space:  global
        .offset:         8
        .size:           8
        .value_kind:     global_buffer
      - .offset:         16
        .size:           8
        .value_kind:     by_value
      - .offset:         24
        .size:           8
        .value_kind:     by_value
      - .offset:         32
        .size:           8
        .value_kind:     by_value
      - .offset:         40
        .size:           4
        .value_kind:     by_value
      - .offset:         44
        .size:           4
        .value_kind:     by_value
      - .offset:         48
        .size:           4
        .value_kind:     by_value
      - .offset:         52
        .size:           4
        .value_kind:     by_value
      - .offset:         56
        .size:           4
        .value_kind:     by_value
      - .offset:         60
        .size:           4
        .value_kind:     by_value
      - .offset:         64
        .size:           4
        .value_kind:     by_value
      - .offset:         68
        .size:           4
        .value_kind:     by_value
      - .offset:         72
        .size:           4
        .value_kind:     by_value
      - .offset:         76
        .size:           4
        .value_kind:     by_value
      - .address_space:  global
        .offset:         80
        .size:           8
        .value_kind:     global_buffer
      - .address_space:  global
        .offset:         88
        .size:           8
        .value_kind:     global_buffer
      - .offset:         96
        .size:           4
        .value_kind:     hidden_block_count_x
      - .offset:         100
        .size:           4
        .value_kind:     hidden_block_count_y
      - .offset:         104
        .size:           4
        .value_kind:     hidden_block_count_z
      - .offset:         108
        .size:           2
        .value_kind:     hidden_group_size_x
      - .offset:         110
        .size:           2
        .value_kind:     hidden_group_size_y
      - .offset:         112
        .size:           2
        .value_kind:     hidden_group_size_z
      - .offset:         114
        .size:           2
        .value_kind:     hidden_remainder_x
      - .offset:         116
        .size:           2
        .value_kind:     hidden_remainder_y
      - .offset:         118
        .size:           2
        .value_kind:     hidden_remainder_z
      - .offset:         136
        .size:           8
        .value_kind:     hidden_global_offset_x
      - .offset:         144
        .size:           8
        .value_kind:     hidden_global_offset_y
      - .offset:         152
        .size:           8
        .value_kind:     hidden_global_offset_z
      - .offset:         160
        .size:           2
        .value_kind:     hidden_grid_dims
    .group_segment_fixed_size: 0
    .kernarg_segment_align: 8
    .kernarg_segment_size: 352
    .language:       OpenCL C
    .language_version:
      - 2
      - 0
    .max_flat_workgroup_size: 1024
    .name:           _ZN2at6native12_GLOBAL__N_121max_pool_forward_nchwIN3c104HalfEiEEvT0_PKT_llliiiiiiiiiiPS6_Pl
    .private_segment_fixed_size: 0
    .sgpr_count:     62
    .sgpr_spill_count: 0
    .symbol:         _ZN2at6native12_GLOBAL__N_121max_pool_forward_nchwIN3c104HalfEiEEvT0_PKT_llliiiiiiiiiiPS6_Pl.kd
    .uniform_work_group_size: 1
    .uses_dynamic_stack: false
    .vgpr_count:     24
    .vgpr_spill_count: 0
    .wavefront_size: 64
  - .agpr_count:     0
    .args:
      - .offset:         0
        .size:           8
        .value_kind:     by_value
      - .address_space:  global
        .offset:         8
        .size:           8
        .value_kind:     global_buffer
      - .offset:         16
        .size:           8
        .value_kind:     by_value
      - .offset:         24
        .size:           8
        .value_kind:     by_value
      - .offset:         32
        .size:           8
        .value_kind:     by_value
      - .offset:         40
        .size:           4
        .value_kind:     by_value
      - .offset:         44
        .size:           4
        .value_kind:     by_value
      - .offset:         48
        .size:           4
        .value_kind:     by_value
      - .offset:         52
        .size:           4
        .value_kind:     by_value
      - .offset:         56
        .size:           4
        .value_kind:     by_value
      - .offset:         60
        .size:           4
        .value_kind:     by_value
      - .offset:         64
        .size:           4
        .value_kind:     by_value
      - .offset:         68
        .size:           4
        .value_kind:     by_value
      - .offset:         72
        .size:           4
        .value_kind:     by_value
      - .offset:         76
        .size:           4
        .value_kind:     by_value
      - .address_space:  global
        .offset:         80
        .size:           8
        .value_kind:     global_buffer
      - .address_space:  global
        .offset:         88
        .size:           8
        .value_kind:     global_buffer
      - .offset:         96
        .size:           4
        .value_kind:     hidden_block_count_x
      - .offset:         100
        .size:           4
        .value_kind:     hidden_block_count_y
      - .offset:         104
        .size:           4
        .value_kind:     hidden_block_count_z
      - .offset:         108
        .size:           2
        .value_kind:     hidden_group_size_x
      - .offset:         110
        .size:           2
        .value_kind:     hidden_group_size_y
      - .offset:         112
        .size:           2
        .value_kind:     hidden_group_size_z
      - .offset:         114
        .size:           2
        .value_kind:     hidden_remainder_x
      - .offset:         116
        .size:           2
        .value_kind:     hidden_remainder_y
      - .offset:         118
        .size:           2
        .value_kind:     hidden_remainder_z
      - .offset:         136
        .size:           8
        .value_kind:     hidden_global_offset_x
      - .offset:         144
        .size:           8
        .value_kind:     hidden_global_offset_y
      - .offset:         152
        .size:           8
        .value_kind:     hidden_global_offset_z
      - .offset:         160
        .size:           2
        .value_kind:     hidden_grid_dims
    .group_segment_fixed_size: 0
    .kernarg_segment_align: 8
    .kernarg_segment_size: 352
    .language:       OpenCL C
    .language_version:
      - 2
      - 0
    .max_flat_workgroup_size: 1024
    .name:           _ZN2at6native12_GLOBAL__N_121max_pool_forward_nchwIN3c104HalfElEEvT0_PKT_llliiiiiiiiiiPS6_Pl
    .private_segment_fixed_size: 0
    .sgpr_count:     63
    .sgpr_spill_count: 0
    .symbol:         _ZN2at6native12_GLOBAL__N_121max_pool_forward_nchwIN3c104HalfElEEvT0_PKT_llliiiiiiiiiiPS6_Pl.kd
    .uniform_work_group_size: 1
    .uses_dynamic_stack: false
    .vgpr_count:     25
    .vgpr_spill_count: 0
    .wavefront_size: 64
  - .agpr_count:     0
    .args:
      - .address_space:  global
        .offset:         0
        .size:           8
        .value_kind:     global_buffer
      - .offset:         8
        .size:           4
        .value_kind:     by_value
      - .offset:         12
        .size:           4
        .value_kind:     by_value
      - .offset:         16
        .size:           4
        .value_kind:     by_value
      - .offset:         20
        .size:           4
        .value_kind:     by_value
      - .offset:         24
        .size:           4
        .value_kind:     by_value
      - .offset:         28
        .size:           4
        .value_kind:     by_value
      - .offset:         32
        .size:           4
        .value_kind:     by_value
      - .offset:         36
        .size:           4
        .value_kind:     by_value
      - .offset:         40
        .size:           4
        .value_kind:     by_value
      - .offset:         44
        .size:           4
        .value_kind:     by_value
      - .offset:         48
        .size:           4
        .value_kind:     by_value
      - .offset:         52
        .size:           4
        .value_kind:     by_value
      - .offset:         56
        .size:           4
        .value_kind:     by_value
      - .offset:         60
        .size:           4
        .value_kind:     by_value
      - .offset:         64
        .size:           4
        .value_kind:     by_value
      - .offset:         68
        .size:           4
        .value_kind:     by_value
      - .offset:         72
        .size:           4
        .value_kind:     by_value
      - .offset:         76
        .size:           4
        .value_kind:     by_value
      - .offset:         80
        .size:           4
        .value_kind:     by_value
      - .offset:         84
        .size:           4
        .value_kind:     by_value
      - .address_space:  global
        .offset:         88
        .size:           8
        .value_kind:     global_buffer
      - .address_space:  global
        .offset:         96
        .size:           8
        .value_kind:     global_buffer
      - .offset:         104
        .size:           4
        .value_kind:     hidden_block_count_x
      - .offset:         108
        .size:           4
        .value_kind:     hidden_block_count_y
      - .offset:         112
        .size:           4
        .value_kind:     hidden_block_count_z
      - .offset:         116
        .size:           2
        .value_kind:     hidden_group_size_x
      - .offset:         118
        .size:           2
        .value_kind:     hidden_group_size_y
      - .offset:         120
        .size:           2
        .value_kind:     hidden_group_size_z
      - .offset:         122
        .size:           2
        .value_kind:     hidden_remainder_x
      - .offset:         124
        .size:           2
        .value_kind:     hidden_remainder_y
      - .offset:         126
        .size:           2
        .value_kind:     hidden_remainder_z
      - .offset:         144
        .size:           8
        .value_kind:     hidden_global_offset_x
      - .offset:         152
        .size:           8
        .value_kind:     hidden_global_offset_y
      - .offset:         160
        .size:           8
        .value_kind:     hidden_global_offset_z
      - .offset:         168
        .size:           2
        .value_kind:     hidden_grid_dims
      - .offset:         224
        .size:           4
        .value_kind:     hidden_dynamic_lds_size
    .group_segment_fixed_size: 0
    .kernarg_segment_align: 8
    .kernarg_segment_size: 360
    .language:       OpenCL C
    .language_version:
      - 2
      - 0
    .max_flat_workgroup_size: 256
    .name:           _ZN2at6native12_GLOBAL__N_121max_pool_forward_nhwcIN3c108BFloat16EiEEvPKT_iT0_S8_S8_S8_S8_iiiiiiiiS8_S8_S8_S8_iiPS5_Pl
    .private_segment_fixed_size: 0
    .sgpr_count:     71
    .sgpr_spill_count: 0
    .symbol:         _ZN2at6native12_GLOBAL__N_121max_pool_forward_nhwcIN3c108BFloat16EiEEvPKT_iT0_S8_S8_S8_S8_iiiiiiiiS8_S8_S8_S8_iiPS5_Pl.kd
    .uniform_work_group_size: 1
    .uses_dynamic_stack: false
    .vgpr_count:     46
    .vgpr_spill_count: 0
    .wavefront_size: 64
  - .agpr_count:     0
    .args:
      - .address_space:  global
        .offset:         0
        .size:           8
        .value_kind:     global_buffer
      - .offset:         8
        .size:           4
        .value_kind:     by_value
      - .offset:         16
        .size:           8
        .value_kind:     by_value
      - .offset:         24
        .size:           8
        .value_kind:     by_value
      - .offset:         32
        .size:           8
        .value_kind:     by_value
      - .offset:         40
        .size:           8
        .value_kind:     by_value
      - .offset:         48
        .size:           8
        .value_kind:     by_value
      - .offset:         56
        .size:           4
        .value_kind:     by_value
      - .offset:         60
        .size:           4
        .value_kind:     by_value
      - .offset:         64
        .size:           4
        .value_kind:     by_value
      - .offset:         68
        .size:           4
        .value_kind:     by_value
      - .offset:         72
        .size:           4
        .value_kind:     by_value
      - .offset:         76
        .size:           4
        .value_kind:     by_value
      - .offset:         80
        .size:           4
        .value_kind:     by_value
      - .offset:         84
        .size:           4
        .value_kind:     by_value
      - .offset:         88
        .size:           8
        .value_kind:     by_value
      - .offset:         96
        .size:           8
        .value_kind:     by_value
      - .offset:         104
        .size:           8
        .value_kind:     by_value
      - .offset:         112
        .size:           8
        .value_kind:     by_value
      - .offset:         120
        .size:           4
        .value_kind:     by_value
      - .offset:         124
        .size:           4
        .value_kind:     by_value
      - .address_space:  global
        .offset:         128
        .size:           8
        .value_kind:     global_buffer
      - .address_space:  global
        .offset:         136
        .size:           8
        .value_kind:     global_buffer
      - .offset:         144
        .size:           4
        .value_kind:     hidden_block_count_x
      - .offset:         148
        .size:           4
        .value_kind:     hidden_block_count_y
      - .offset:         152
        .size:           4
        .value_kind:     hidden_block_count_z
      - .offset:         156
        .size:           2
        .value_kind:     hidden_group_size_x
      - .offset:         158
        .size:           2
        .value_kind:     hidden_group_size_y
      - .offset:         160
        .size:           2
        .value_kind:     hidden_group_size_z
      - .offset:         162
        .size:           2
        .value_kind:     hidden_remainder_x
      - .offset:         164
        .size:           2
        .value_kind:     hidden_remainder_y
      - .offset:         166
        .size:           2
        .value_kind:     hidden_remainder_z
      - .offset:         184
        .size:           8
        .value_kind:     hidden_global_offset_x
      - .offset:         192
        .size:           8
        .value_kind:     hidden_global_offset_y
      - .offset:         200
        .size:           8
        .value_kind:     hidden_global_offset_z
      - .offset:         208
        .size:           2
        .value_kind:     hidden_grid_dims
      - .offset:         264
        .size:           4
        .value_kind:     hidden_dynamic_lds_size
    .group_segment_fixed_size: 0
    .kernarg_segment_align: 8
    .kernarg_segment_size: 400
    .language:       OpenCL C
    .language_version:
      - 2
      - 0
    .max_flat_workgroup_size: 256
    .name:           _ZN2at6native12_GLOBAL__N_121max_pool_forward_nhwcIN3c108BFloat16ElEEvPKT_iT0_S8_S8_S8_S8_iiiiiiiiS8_S8_S8_S8_iiPS5_Pl
    .private_segment_fixed_size: 0
    .sgpr_count:     85
    .sgpr_spill_count: 0
    .symbol:         _ZN2at6native12_GLOBAL__N_121max_pool_forward_nhwcIN3c108BFloat16ElEEvPKT_iT0_S8_S8_S8_S8_iiiiiiiiS8_S8_S8_S8_iiPS5_Pl.kd
    .uniform_work_group_size: 1
    .uses_dynamic_stack: false
    .vgpr_count:     62
    .vgpr_spill_count: 0
    .wavefront_size: 64
  - .agpr_count:     0
    .args:
      - .offset:         0
        .size:           4
        .value_kind:     by_value
      - .address_space:  global
        .offset:         8
        .size:           8
        .value_kind:     global_buffer
      - .offset:         16
        .size:           8
        .value_kind:     by_value
      - .offset:         24
        .size:           8
        .value_kind:     by_value
      - .offset:         32
        .size:           8
        .value_kind:     by_value
      - .offset:         40
        .size:           4
        .value_kind:     by_value
      - .offset:         44
        .size:           4
        .value_kind:     by_value
      - .offset:         48
        .size:           4
        .value_kind:     by_value
      - .offset:         52
        .size:           4
        .value_kind:     by_value
      - .offset:         56
        .size:           4
        .value_kind:     by_value
      - .offset:         60
        .size:           4
        .value_kind:     by_value
      - .offset:         64
        .size:           4
        .value_kind:     by_value
      - .offset:         68
        .size:           4
        .value_kind:     by_value
      - .offset:         72
        .size:           4
        .value_kind:     by_value
      - .offset:         76
        .size:           4
        .value_kind:     by_value
      - .address_space:  global
        .offset:         80
        .size:           8
        .value_kind:     global_buffer
      - .address_space:  global
        .offset:         88
        .size:           8
        .value_kind:     global_buffer
      - .offset:         96
        .size:           4
        .value_kind:     hidden_block_count_x
      - .offset:         100
        .size:           4
        .value_kind:     hidden_block_count_y
      - .offset:         104
        .size:           4
        .value_kind:     hidden_block_count_z
      - .offset:         108
        .size:           2
        .value_kind:     hidden_group_size_x
      - .offset:         110
        .size:           2
        .value_kind:     hidden_group_size_y
      - .offset:         112
        .size:           2
        .value_kind:     hidden_group_size_z
      - .offset:         114
        .size:           2
        .value_kind:     hidden_remainder_x
      - .offset:         116
        .size:           2
        .value_kind:     hidden_remainder_y
      - .offset:         118
        .size:           2
        .value_kind:     hidden_remainder_z
      - .offset:         136
        .size:           8
        .value_kind:     hidden_global_offset_x
      - .offset:         144
        .size:           8
        .value_kind:     hidden_global_offset_y
      - .offset:         152
        .size:           8
        .value_kind:     hidden_global_offset_z
      - .offset:         160
        .size:           2
        .value_kind:     hidden_grid_dims
    .group_segment_fixed_size: 0
    .kernarg_segment_align: 8
    .kernarg_segment_size: 352
    .language:       OpenCL C
    .language_version:
      - 2
      - 0
    .max_flat_workgroup_size: 1024
    .name:           _ZN2at6native12_GLOBAL__N_121max_pool_forward_nchwIN3c108BFloat16EiEEvT0_PKT_llliiiiiiiiiiPS6_Pl
    .private_segment_fixed_size: 0
    .sgpr_count:     62
    .sgpr_spill_count: 0
    .symbol:         _ZN2at6native12_GLOBAL__N_121max_pool_forward_nchwIN3c108BFloat16EiEEvT0_PKT_llliiiiiiiiiiPS6_Pl.kd
    .uniform_work_group_size: 1
    .uses_dynamic_stack: false
    .vgpr_count:     24
    .vgpr_spill_count: 0
    .wavefront_size: 64
  - .agpr_count:     0
    .args:
      - .offset:         0
        .size:           8
        .value_kind:     by_value
      - .address_space:  global
        .offset:         8
        .size:           8
        .value_kind:     global_buffer
      - .offset:         16
        .size:           8
        .value_kind:     by_value
      - .offset:         24
        .size:           8
        .value_kind:     by_value
      - .offset:         32
        .size:           8
        .value_kind:     by_value
      - .offset:         40
        .size:           4
        .value_kind:     by_value
      - .offset:         44
        .size:           4
        .value_kind:     by_value
      - .offset:         48
        .size:           4
        .value_kind:     by_value
      - .offset:         52
        .size:           4
        .value_kind:     by_value
      - .offset:         56
        .size:           4
        .value_kind:     by_value
      - .offset:         60
        .size:           4
        .value_kind:     by_value
      - .offset:         64
        .size:           4
        .value_kind:     by_value
      - .offset:         68
        .size:           4
        .value_kind:     by_value
      - .offset:         72
        .size:           4
        .value_kind:     by_value
      - .offset:         76
        .size:           4
        .value_kind:     by_value
      - .address_space:  global
        .offset:         80
        .size:           8
        .value_kind:     global_buffer
      - .address_space:  global
        .offset:         88
        .size:           8
        .value_kind:     global_buffer
      - .offset:         96
        .size:           4
        .value_kind:     hidden_block_count_x
      - .offset:         100
        .size:           4
        .value_kind:     hidden_block_count_y
      - .offset:         104
        .size:           4
        .value_kind:     hidden_block_count_z
      - .offset:         108
        .size:           2
        .value_kind:     hidden_group_size_x
      - .offset:         110
        .size:           2
        .value_kind:     hidden_group_size_y
      - .offset:         112
        .size:           2
        .value_kind:     hidden_group_size_z
      - .offset:         114
        .size:           2
        .value_kind:     hidden_remainder_x
      - .offset:         116
        .size:           2
        .value_kind:     hidden_remainder_y
      - .offset:         118
        .size:           2
        .value_kind:     hidden_remainder_z
      - .offset:         136
        .size:           8
        .value_kind:     hidden_global_offset_x
      - .offset:         144
        .size:           8
        .value_kind:     hidden_global_offset_y
      - .offset:         152
        .size:           8
        .value_kind:     hidden_global_offset_z
      - .offset:         160
        .size:           2
        .value_kind:     hidden_grid_dims
    .group_segment_fixed_size: 0
    .kernarg_segment_align: 8
    .kernarg_segment_size: 352
    .language:       OpenCL C
    .language_version:
      - 2
      - 0
    .max_flat_workgroup_size: 1024
    .name:           _ZN2at6native12_GLOBAL__N_121max_pool_forward_nchwIN3c108BFloat16ElEEvT0_PKT_llliiiiiiiiiiPS6_Pl
    .private_segment_fixed_size: 0
    .sgpr_count:     63
    .sgpr_spill_count: 0
    .symbol:         _ZN2at6native12_GLOBAL__N_121max_pool_forward_nchwIN3c108BFloat16ElEEvT0_PKT_llliiiiiiiiiiPS6_Pl.kd
    .uniform_work_group_size: 1
    .uses_dynamic_stack: false
    .vgpr_count:     25
    .vgpr_spill_count: 0
    .wavefront_size: 64
  - .agpr_count:     0
    .args:
      - .address_space:  global
        .offset:         0
        .size:           8
        .value_kind:     global_buffer
      - .address_space:  global
        .offset:         8
        .size:           8
        .value_kind:     global_buffer
      - .offset:         16
        .size:           4
        .value_kind:     by_value
      - .offset:         24
        .size:           8
        .value_kind:     by_value
      - .offset:         32
        .size:           8
        .value_kind:     by_value
      - .offset:         40
        .size:           8
        .value_kind:     by_value
      - .offset:         48
        .size:           4
        .value_kind:     by_value
      - .offset:         52
        .size:           4
        .value_kind:     by_value
      - .offset:         56
        .size:           4
        .value_kind:     by_value
      - .offset:         60
        .size:           4
        .value_kind:     by_value
      - .offset:         64
        .size:           4
        .value_kind:     by_value
      - .offset:         68
        .size:           4
        .value_kind:     by_value
      - .offset:         72
        .size:           4
        .value_kind:     by_value
      - .offset:         76
        .size:           4
        .value_kind:     by_value
      - .offset:         80
        .size:           4
        .value_kind:     by_value
      - .offset:         84
        .size:           4
        .value_kind:     by_value
      - .offset:         88
        .size:           4
        .value_kind:     by_value
      - .offset:         92
        .size:           4
        .value_kind:     by_value
      - .offset:         96
        .size:           4
        .value_kind:     by_value
      - .offset:         100
        .size:           4
        .value_kind:     by_value
      - .offset:         104
        .size:           4
        .value_kind:     by_value
      - .address_space:  global
        .offset:         112
        .size:           8
        .value_kind:     global_buffer
      - .offset:         120
        .size:           4
        .value_kind:     hidden_block_count_x
      - .offset:         124
        .size:           4
        .value_kind:     hidden_block_count_y
      - .offset:         128
        .size:           4
        .value_kind:     hidden_block_count_z
      - .offset:         132
        .size:           2
        .value_kind:     hidden_group_size_x
      - .offset:         134
        .size:           2
        .value_kind:     hidden_group_size_y
      - .offset:         136
        .size:           2
        .value_kind:     hidden_group_size_z
      - .offset:         138
        .size:           2
        .value_kind:     hidden_remainder_x
      - .offset:         140
        .size:           2
        .value_kind:     hidden_remainder_y
      - .offset:         142
        .size:           2
        .value_kind:     hidden_remainder_z
      - .offset:         160
        .size:           8
        .value_kind:     hidden_global_offset_x
      - .offset:         168
        .size:           8
        .value_kind:     hidden_global_offset_y
      - .offset:         176
        .size:           8
        .value_kind:     hidden_global_offset_z
      - .offset:         184
        .size:           2
        .value_kind:     hidden_grid_dims
      - .offset:         240
        .size:           4
        .value_kind:     hidden_dynamic_lds_size
    .group_segment_fixed_size: 0
    .kernarg_segment_align: 8
    .kernarg_segment_size: 376
    .language:       OpenCL C
    .language_version:
      - 2
      - 0
    .max_flat_workgroup_size: 256
    .name:           _ZN2at6native12_GLOBAL__N_122max_pool_backward_nhwcIddEEvPKT_PKlillliiiiiiiiiiiiiiiPS3_
    .private_segment_fixed_size: 0
    .sgpr_count:     71
    .sgpr_spill_count: 0
    .symbol:         _ZN2at6native12_GLOBAL__N_122max_pool_backward_nhwcIddEEvPKT_PKlillliiiiiiiiiiiiiiiPS3_.kd
    .uniform_work_group_size: 1
    .uses_dynamic_stack: false
    .vgpr_count:     56
    .vgpr_spill_count: 0
    .wavefront_size: 64
  - .agpr_count:     0
    .args:
      - .address_space:  global
        .offset:         0
        .size:           8
        .value_kind:     global_buffer
      - .address_space:  global
        .offset:         8
        .size:           8
        .value_kind:     global_buffer
      - .offset:         16
        .size:           4
        .value_kind:     by_value
      - .offset:         20
        .size:           4
        .value_kind:     by_value
      - .offset:         24
        .size:           4
        .value_kind:     by_value
      - .offset:         28
        .size:           4
        .value_kind:     by_value
      - .offset:         32
        .size:           4
        .value_kind:     by_value
      - .offset:         36
        .size:           4
        .value_kind:     by_value
      - .offset:         40
        .size:           4
        .value_kind:     by_value
      - .offset:         44
        .size:           4
        .value_kind:     by_value
      - .offset:         48
        .size:           4
        .value_kind:     by_value
      - .offset:         52
        .size:           4
        .value_kind:     by_value
      - .offset:         56
        .size:           4
        .value_kind:     by_value
      - .offset:         60
        .size:           4
        .value_kind:     by_value
      - .offset:         64
        .size:           4
        .value_kind:     by_value
      - .offset:         68
        .size:           4
        .value_kind:     by_value
      - .address_space:  global
        .offset:         72
        .size:           8
        .value_kind:     global_buffer
      - .offset:         80
        .size:           4
        .value_kind:     hidden_block_count_x
      - .offset:         84
        .size:           4
        .value_kind:     hidden_block_count_y
      - .offset:         88
        .size:           4
        .value_kind:     hidden_block_count_z
      - .offset:         92
        .size:           2
        .value_kind:     hidden_group_size_x
      - .offset:         94
        .size:           2
        .value_kind:     hidden_group_size_y
      - .offset:         96
        .size:           2
        .value_kind:     hidden_group_size_z
      - .offset:         98
        .size:           2
        .value_kind:     hidden_remainder_x
      - .offset:         100
        .size:           2
        .value_kind:     hidden_remainder_y
      - .offset:         102
        .size:           2
        .value_kind:     hidden_remainder_z
      - .offset:         120
        .size:           8
        .value_kind:     hidden_global_offset_x
      - .offset:         128
        .size:           8
        .value_kind:     hidden_global_offset_y
      - .offset:         136
        .size:           8
        .value_kind:     hidden_global_offset_z
      - .offset:         144
        .size:           2
        .value_kind:     hidden_grid_dims
    .group_segment_fixed_size: 0
    .kernarg_segment_align: 8
    .kernarg_segment_size: 336
    .language:       OpenCL C
    .language_version:
      - 2
      - 0
    .max_flat_workgroup_size: 256
    .name:           _ZN2at6native12_GLOBAL__N_122max_pool_backward_nchwIddiEEvPKT_PKlT1_S8_S8_S8_S8_S8_iiiiiiiiPS3_
    .private_segment_fixed_size: 0
    .sgpr_count:     66
    .sgpr_spill_count: 0
    .symbol:         _ZN2at6native12_GLOBAL__N_122max_pool_backward_nchwIddiEEvPKT_PKlT1_S8_S8_S8_S8_S8_iiiiiiiiPS3_.kd
    .uniform_work_group_size: 1
    .uses_dynamic_stack: false
    .vgpr_count:     24
    .vgpr_spill_count: 0
    .wavefront_size: 64
  - .agpr_count:     0
    .args:
      - .address_space:  global
        .offset:         0
        .size:           8
        .value_kind:     global_buffer
      - .address_space:  global
        .offset:         8
        .size:           8
        .value_kind:     global_buffer
      - .offset:         16
        .size:           8
        .value_kind:     by_value
      - .offset:         24
        .size:           8
        .value_kind:     by_value
      - .offset:         32
        .size:           8
        .value_kind:     by_value
      - .offset:         40
        .size:           8
        .value_kind:     by_value
      - .offset:         48
        .size:           8
        .value_kind:     by_value
      - .offset:         56
        .size:           8
        .value_kind:     by_value
      - .offset:         64
        .size:           4
        .value_kind:     by_value
      - .offset:         68
        .size:           4
        .value_kind:     by_value
      - .offset:         72
        .size:           4
        .value_kind:     by_value
      - .offset:         76
        .size:           4
        .value_kind:     by_value
      - .offset:         80
        .size:           4
        .value_kind:     by_value
      - .offset:         84
        .size:           4
        .value_kind:     by_value
      - .offset:         88
        .size:           4
        .value_kind:     by_value
      - .offset:         92
        .size:           4
        .value_kind:     by_value
      - .address_space:  global
        .offset:         96
        .size:           8
        .value_kind:     global_buffer
      - .offset:         104
        .size:           4
        .value_kind:     hidden_block_count_x
      - .offset:         108
        .size:           4
        .value_kind:     hidden_block_count_y
      - .offset:         112
        .size:           4
        .value_kind:     hidden_block_count_z
      - .offset:         116
        .size:           2
        .value_kind:     hidden_group_size_x
      - .offset:         118
        .size:           2
        .value_kind:     hidden_group_size_y
      - .offset:         120
        .size:           2
        .value_kind:     hidden_group_size_z
      - .offset:         122
        .size:           2
        .value_kind:     hidden_remainder_x
      - .offset:         124
        .size:           2
        .value_kind:     hidden_remainder_y
      - .offset:         126
        .size:           2
        .value_kind:     hidden_remainder_z
      - .offset:         144
        .size:           8
        .value_kind:     hidden_global_offset_x
      - .offset:         152
        .size:           8
        .value_kind:     hidden_global_offset_y
      - .offset:         160
        .size:           8
        .value_kind:     hidden_global_offset_z
      - .offset:         168
        .size:           2
        .value_kind:     hidden_grid_dims
    .group_segment_fixed_size: 0
    .kernarg_segment_align: 8
    .kernarg_segment_size: 360
    .language:       OpenCL C
    .language_version:
      - 2
      - 0
    .max_flat_workgroup_size: 256
    .name:           _ZN2at6native12_GLOBAL__N_122max_pool_backward_nchwIddlEEvPKT_PKlT1_S8_S8_S8_S8_S8_iiiiiiiiPS3_
    .private_segment_fixed_size: 0
    .sgpr_count:     82
    .sgpr_spill_count: 0
    .symbol:         _ZN2at6native12_GLOBAL__N_122max_pool_backward_nchwIddlEEvPKT_PKlT1_S8_S8_S8_S8_S8_iiiiiiiiPS3_.kd
    .uniform_work_group_size: 1
    .uses_dynamic_stack: false
    .vgpr_count:     40
    .vgpr_spill_count: 0
    .wavefront_size: 64
  - .agpr_count:     0
    .args:
      - .address_space:  global
        .offset:         0
        .size:           8
        .value_kind:     global_buffer
      - .address_space:  global
        .offset:         8
        .size:           8
        .value_kind:     global_buffer
      - .offset:         16
        .size:           4
        .value_kind:     by_value
      - .offset:         24
        .size:           8
        .value_kind:     by_value
      - .offset:         32
        .size:           8
        .value_kind:     by_value
      - .offset:         40
        .size:           8
        .value_kind:     by_value
      - .offset:         48
        .size:           4
        .value_kind:     by_value
      - .offset:         52
        .size:           4
        .value_kind:     by_value
      - .offset:         56
        .size:           4
        .value_kind:     by_value
      - .offset:         60
        .size:           4
        .value_kind:     by_value
      - .offset:         64
        .size:           4
        .value_kind:     by_value
      - .offset:         68
        .size:           4
        .value_kind:     by_value
      - .offset:         72
        .size:           4
        .value_kind:     by_value
      - .offset:         76
        .size:           4
        .value_kind:     by_value
      - .offset:         80
        .size:           4
        .value_kind:     by_value
      - .offset:         84
        .size:           4
        .value_kind:     by_value
      - .offset:         88
        .size:           4
        .value_kind:     by_value
      - .offset:         92
        .size:           4
        .value_kind:     by_value
      - .offset:         96
        .size:           4
        .value_kind:     by_value
      - .offset:         100
        .size:           4
        .value_kind:     by_value
      - .offset:         104
        .size:           4
        .value_kind:     by_value
      - .address_space:  global
        .offset:         112
        .size:           8
        .value_kind:     global_buffer
      - .offset:         120
        .size:           4
        .value_kind:     hidden_block_count_x
      - .offset:         124
        .size:           4
        .value_kind:     hidden_block_count_y
      - .offset:         128
        .size:           4
        .value_kind:     hidden_block_count_z
      - .offset:         132
        .size:           2
        .value_kind:     hidden_group_size_x
      - .offset:         134
        .size:           2
        .value_kind:     hidden_group_size_y
      - .offset:         136
        .size:           2
        .value_kind:     hidden_group_size_z
      - .offset:         138
        .size:           2
        .value_kind:     hidden_remainder_x
      - .offset:         140
        .size:           2
        .value_kind:     hidden_remainder_y
      - .offset:         142
        .size:           2
        .value_kind:     hidden_remainder_z
      - .offset:         160
        .size:           8
        .value_kind:     hidden_global_offset_x
      - .offset:         168
        .size:           8
        .value_kind:     hidden_global_offset_y
      - .offset:         176
        .size:           8
        .value_kind:     hidden_global_offset_z
      - .offset:         184
        .size:           2
        .value_kind:     hidden_grid_dims
      - .offset:         240
        .size:           4
        .value_kind:     hidden_dynamic_lds_size
    .group_segment_fixed_size: 0
    .kernarg_segment_align: 8
    .kernarg_segment_size: 376
    .language:       OpenCL C
    .language_version:
      - 2
      - 0
    .max_flat_workgroup_size: 256
    .name:           _ZN2at6native12_GLOBAL__N_122max_pool_backward_nhwcIffEEvPKT_PKlillliiiiiiiiiiiiiiiPS3_
    .private_segment_fixed_size: 0
    .sgpr_count:     71
    .sgpr_spill_count: 0
    .symbol:         _ZN2at6native12_GLOBAL__N_122max_pool_backward_nhwcIffEEvPKT_PKlillliiiiiiiiiiiiiiiPS3_.kd
    .uniform_work_group_size: 1
    .uses_dynamic_stack: false
    .vgpr_count:     50
    .vgpr_spill_count: 0
    .wavefront_size: 64
  - .agpr_count:     0
    .args:
      - .address_space:  global
        .offset:         0
        .size:           8
        .value_kind:     global_buffer
      - .address_space:  global
        .offset:         8
        .size:           8
        .value_kind:     global_buffer
      - .offset:         16
        .size:           4
        .value_kind:     by_value
      - .offset:         20
        .size:           4
        .value_kind:     by_value
      - .offset:         24
        .size:           4
        .value_kind:     by_value
      - .offset:         28
        .size:           4
        .value_kind:     by_value
      - .offset:         32
        .size:           4
        .value_kind:     by_value
      - .offset:         36
        .size:           4
        .value_kind:     by_value
      - .offset:         40
        .size:           4
        .value_kind:     by_value
      - .offset:         44
        .size:           4
        .value_kind:     by_value
      - .offset:         48
        .size:           4
        .value_kind:     by_value
      - .offset:         52
        .size:           4
        .value_kind:     by_value
      - .offset:         56
        .size:           4
        .value_kind:     by_value
      - .offset:         60
        .size:           4
        .value_kind:     by_value
      - .offset:         64
        .size:           4
        .value_kind:     by_value
      - .offset:         68
        .size:           4
        .value_kind:     by_value
      - .address_space:  global
        .offset:         72
        .size:           8
        .value_kind:     global_buffer
      - .offset:         80
        .size:           4
        .value_kind:     hidden_block_count_x
      - .offset:         84
        .size:           4
        .value_kind:     hidden_block_count_y
      - .offset:         88
        .size:           4
        .value_kind:     hidden_block_count_z
      - .offset:         92
        .size:           2
        .value_kind:     hidden_group_size_x
      - .offset:         94
        .size:           2
        .value_kind:     hidden_group_size_y
      - .offset:         96
        .size:           2
        .value_kind:     hidden_group_size_z
      - .offset:         98
        .size:           2
        .value_kind:     hidden_remainder_x
      - .offset:         100
        .size:           2
        .value_kind:     hidden_remainder_y
      - .offset:         102
        .size:           2
        .value_kind:     hidden_remainder_z
      - .offset:         120
        .size:           8
        .value_kind:     hidden_global_offset_x
      - .offset:         128
        .size:           8
        .value_kind:     hidden_global_offset_y
      - .offset:         136
        .size:           8
        .value_kind:     hidden_global_offset_z
      - .offset:         144
        .size:           2
        .value_kind:     hidden_grid_dims
    .group_segment_fixed_size: 0
    .kernarg_segment_align: 8
    .kernarg_segment_size: 336
    .language:       OpenCL C
    .language_version:
      - 2
      - 0
    .max_flat_workgroup_size: 256
    .name:           _ZN2at6native12_GLOBAL__N_122max_pool_backward_nchwIffiEEvPKT_PKlT1_S8_S8_S8_S8_S8_iiiiiiiiPS3_
    .private_segment_fixed_size: 0
    .sgpr_count:     66
    .sgpr_spill_count: 0
    .symbol:         _ZN2at6native12_GLOBAL__N_122max_pool_backward_nchwIffiEEvPKT_PKlT1_S8_S8_S8_S8_S8_iiiiiiiiPS3_.kd
    .uniform_work_group_size: 1
    .uses_dynamic_stack: false
    .vgpr_count:     22
    .vgpr_spill_count: 0
    .wavefront_size: 64
  - .agpr_count:     0
    .args:
      - .address_space:  global
        .offset:         0
        .size:           8
        .value_kind:     global_buffer
      - .address_space:  global
        .offset:         8
        .size:           8
        .value_kind:     global_buffer
      - .offset:         16
        .size:           8
        .value_kind:     by_value
      - .offset:         24
        .size:           8
        .value_kind:     by_value
      - .offset:         32
        .size:           8
        .value_kind:     by_value
      - .offset:         40
        .size:           8
        .value_kind:     by_value
      - .offset:         48
        .size:           8
        .value_kind:     by_value
      - .offset:         56
        .size:           8
        .value_kind:     by_value
      - .offset:         64
        .size:           4
        .value_kind:     by_value
      - .offset:         68
        .size:           4
        .value_kind:     by_value
      - .offset:         72
        .size:           4
        .value_kind:     by_value
      - .offset:         76
        .size:           4
        .value_kind:     by_value
      - .offset:         80
        .size:           4
        .value_kind:     by_value
      - .offset:         84
        .size:           4
        .value_kind:     by_value
      - .offset:         88
        .size:           4
        .value_kind:     by_value
      - .offset:         92
        .size:           4
        .value_kind:     by_value
      - .address_space:  global
        .offset:         96
        .size:           8
        .value_kind:     global_buffer
      - .offset:         104
        .size:           4
        .value_kind:     hidden_block_count_x
      - .offset:         108
        .size:           4
        .value_kind:     hidden_block_count_y
      - .offset:         112
        .size:           4
        .value_kind:     hidden_block_count_z
      - .offset:         116
        .size:           2
        .value_kind:     hidden_group_size_x
      - .offset:         118
        .size:           2
        .value_kind:     hidden_group_size_y
      - .offset:         120
        .size:           2
        .value_kind:     hidden_group_size_z
      - .offset:         122
        .size:           2
        .value_kind:     hidden_remainder_x
      - .offset:         124
        .size:           2
        .value_kind:     hidden_remainder_y
      - .offset:         126
        .size:           2
        .value_kind:     hidden_remainder_z
      - .offset:         144
        .size:           8
        .value_kind:     hidden_global_offset_x
      - .offset:         152
        .size:           8
        .value_kind:     hidden_global_offset_y
      - .offset:         160
        .size:           8
        .value_kind:     hidden_global_offset_z
      - .offset:         168
        .size:           2
        .value_kind:     hidden_grid_dims
    .group_segment_fixed_size: 0
    .kernarg_segment_align: 8
    .kernarg_segment_size: 360
    .language:       OpenCL C
    .language_version:
      - 2
      - 0
    .max_flat_workgroup_size: 256
    .name:           _ZN2at6native12_GLOBAL__N_122max_pool_backward_nchwIfflEEvPKT_PKlT1_S8_S8_S8_S8_S8_iiiiiiiiPS3_
    .private_segment_fixed_size: 0
    .sgpr_count:     92
    .sgpr_spill_count: 0
    .symbol:         _ZN2at6native12_GLOBAL__N_122max_pool_backward_nchwIfflEEvPKT_PKlT1_S8_S8_S8_S8_S8_iiiiiiiiPS3_.kd
    .uniform_work_group_size: 1
    .uses_dynamic_stack: false
    .vgpr_count:     38
    .vgpr_spill_count: 0
    .wavefront_size: 64
  - .agpr_count:     0
    .args:
      - .address_space:  global
        .offset:         0
        .size:           8
        .value_kind:     global_buffer
      - .address_space:  global
        .offset:         8
        .size:           8
        .value_kind:     global_buffer
      - .offset:         16
        .size:           4
        .value_kind:     by_value
      - .offset:         24
        .size:           8
        .value_kind:     by_value
      - .offset:         32
        .size:           8
        .value_kind:     by_value
      - .offset:         40
        .size:           8
        .value_kind:     by_value
      - .offset:         48
        .size:           4
        .value_kind:     by_value
      - .offset:         52
        .size:           4
        .value_kind:     by_value
      - .offset:         56
        .size:           4
        .value_kind:     by_value
      - .offset:         60
        .size:           4
        .value_kind:     by_value
      - .offset:         64
        .size:           4
        .value_kind:     by_value
      - .offset:         68
        .size:           4
        .value_kind:     by_value
      - .offset:         72
        .size:           4
        .value_kind:     by_value
      - .offset:         76
        .size:           4
        .value_kind:     by_value
      - .offset:         80
        .size:           4
        .value_kind:     by_value
      - .offset:         84
        .size:           4
        .value_kind:     by_value
      - .offset:         88
        .size:           4
        .value_kind:     by_value
      - .offset:         92
        .size:           4
        .value_kind:     by_value
      - .offset:         96
        .size:           4
        .value_kind:     by_value
      - .offset:         100
        .size:           4
        .value_kind:     by_value
      - .offset:         104
        .size:           4
        .value_kind:     by_value
      - .address_space:  global
        .offset:         112
        .size:           8
        .value_kind:     global_buffer
      - .offset:         120
        .size:           4
        .value_kind:     hidden_block_count_x
      - .offset:         124
        .size:           4
        .value_kind:     hidden_block_count_y
      - .offset:         128
        .size:           4
        .value_kind:     hidden_block_count_z
      - .offset:         132
        .size:           2
        .value_kind:     hidden_group_size_x
      - .offset:         134
        .size:           2
        .value_kind:     hidden_group_size_y
      - .offset:         136
        .size:           2
        .value_kind:     hidden_group_size_z
      - .offset:         138
        .size:           2
        .value_kind:     hidden_remainder_x
      - .offset:         140
        .size:           2
        .value_kind:     hidden_remainder_y
      - .offset:         142
        .size:           2
        .value_kind:     hidden_remainder_z
      - .offset:         160
        .size:           8
        .value_kind:     hidden_global_offset_x
      - .offset:         168
        .size:           8
        .value_kind:     hidden_global_offset_y
      - .offset:         176
        .size:           8
        .value_kind:     hidden_global_offset_z
      - .offset:         184
        .size:           2
        .value_kind:     hidden_grid_dims
      - .offset:         240
        .size:           4
        .value_kind:     hidden_dynamic_lds_size
    .group_segment_fixed_size: 0
    .kernarg_segment_align: 8
    .kernarg_segment_size: 376
    .language:       OpenCL C
    .language_version:
      - 2
      - 0
    .max_flat_workgroup_size: 256
    .name:           _ZN2at6native12_GLOBAL__N_122max_pool_backward_nhwcIN3c104HalfEfEEvPKT_PKlillliiiiiiiiiiiiiiiPS5_
    .private_segment_fixed_size: 0
    .sgpr_count:     71
    .sgpr_spill_count: 0
    .symbol:         _ZN2at6native12_GLOBAL__N_122max_pool_backward_nhwcIN3c104HalfEfEEvPKT_PKlillliiiiiiiiiiiiiiiPS5_.kd
    .uniform_work_group_size: 1
    .uses_dynamic_stack: false
    .vgpr_count:     50
    .vgpr_spill_count: 0
    .wavefront_size: 64
  - .agpr_count:     0
    .args:
      - .address_space:  global
        .offset:         0
        .size:           8
        .value_kind:     global_buffer
      - .address_space:  global
        .offset:         8
        .size:           8
        .value_kind:     global_buffer
      - .offset:         16
        .size:           4
        .value_kind:     by_value
      - .offset:         20
        .size:           4
        .value_kind:     by_value
      - .offset:         24
        .size:           4
        .value_kind:     by_value
      - .offset:         28
        .size:           4
        .value_kind:     by_value
      - .offset:         32
        .size:           4
        .value_kind:     by_value
      - .offset:         36
        .size:           4
        .value_kind:     by_value
      - .offset:         40
        .size:           4
        .value_kind:     by_value
      - .offset:         44
        .size:           4
        .value_kind:     by_value
      - .offset:         48
        .size:           4
        .value_kind:     by_value
      - .offset:         52
        .size:           4
        .value_kind:     by_value
      - .offset:         56
        .size:           4
        .value_kind:     by_value
      - .offset:         60
        .size:           4
        .value_kind:     by_value
      - .offset:         64
        .size:           4
        .value_kind:     by_value
      - .offset:         68
        .size:           4
        .value_kind:     by_value
      - .address_space:  global
        .offset:         72
        .size:           8
        .value_kind:     global_buffer
      - .offset:         80
        .size:           4
        .value_kind:     hidden_block_count_x
      - .offset:         84
        .size:           4
        .value_kind:     hidden_block_count_y
      - .offset:         88
        .size:           4
        .value_kind:     hidden_block_count_z
      - .offset:         92
        .size:           2
        .value_kind:     hidden_group_size_x
      - .offset:         94
        .size:           2
        .value_kind:     hidden_group_size_y
      - .offset:         96
        .size:           2
        .value_kind:     hidden_group_size_z
      - .offset:         98
        .size:           2
        .value_kind:     hidden_remainder_x
      - .offset:         100
        .size:           2
        .value_kind:     hidden_remainder_y
      - .offset:         102
        .size:           2
        .value_kind:     hidden_remainder_z
      - .offset:         120
        .size:           8
        .value_kind:     hidden_global_offset_x
      - .offset:         128
        .size:           8
        .value_kind:     hidden_global_offset_y
      - .offset:         136
        .size:           8
        .value_kind:     hidden_global_offset_z
      - .offset:         144
        .size:           2
        .value_kind:     hidden_grid_dims
    .group_segment_fixed_size: 0
    .kernarg_segment_align: 8
    .kernarg_segment_size: 336
    .language:       OpenCL C
    .language_version:
      - 2
      - 0
    .max_flat_workgroup_size: 256
    .name:           _ZN2at6native12_GLOBAL__N_122max_pool_backward_nchwIN3c104HalfEfiEEvPKT_PKlT1_SA_SA_SA_SA_SA_iiiiiiiiPS5_
    .private_segment_fixed_size: 0
    .sgpr_count:     66
    .sgpr_spill_count: 0
    .symbol:         _ZN2at6native12_GLOBAL__N_122max_pool_backward_nchwIN3c104HalfEfiEEvPKT_PKlT1_SA_SA_SA_SA_SA_iiiiiiiiPS5_.kd
    .uniform_work_group_size: 1
    .uses_dynamic_stack: false
    .vgpr_count:     22
    .vgpr_spill_count: 0
    .wavefront_size: 64
  - .agpr_count:     0
    .args:
      - .address_space:  global
        .offset:         0
        .size:           8
        .value_kind:     global_buffer
      - .address_space:  global
        .offset:         8
        .size:           8
        .value_kind:     global_buffer
      - .offset:         16
        .size:           8
        .value_kind:     by_value
      - .offset:         24
        .size:           8
        .value_kind:     by_value
      - .offset:         32
        .size:           8
        .value_kind:     by_value
      - .offset:         40
        .size:           8
        .value_kind:     by_value
      - .offset:         48
        .size:           8
        .value_kind:     by_value
      - .offset:         56
        .size:           8
        .value_kind:     by_value
      - .offset:         64
        .size:           4
        .value_kind:     by_value
      - .offset:         68
        .size:           4
        .value_kind:     by_value
      - .offset:         72
        .size:           4
        .value_kind:     by_value
      - .offset:         76
        .size:           4
        .value_kind:     by_value
      - .offset:         80
        .size:           4
        .value_kind:     by_value
      - .offset:         84
        .size:           4
        .value_kind:     by_value
      - .offset:         88
        .size:           4
        .value_kind:     by_value
      - .offset:         92
        .size:           4
        .value_kind:     by_value
      - .address_space:  global
        .offset:         96
        .size:           8
        .value_kind:     global_buffer
      - .offset:         104
        .size:           4
        .value_kind:     hidden_block_count_x
      - .offset:         108
        .size:           4
        .value_kind:     hidden_block_count_y
      - .offset:         112
        .size:           4
        .value_kind:     hidden_block_count_z
      - .offset:         116
        .size:           2
        .value_kind:     hidden_group_size_x
      - .offset:         118
        .size:           2
        .value_kind:     hidden_group_size_y
      - .offset:         120
        .size:           2
        .value_kind:     hidden_group_size_z
      - .offset:         122
        .size:           2
        .value_kind:     hidden_remainder_x
      - .offset:         124
        .size:           2
        .value_kind:     hidden_remainder_y
      - .offset:         126
        .size:           2
        .value_kind:     hidden_remainder_z
      - .offset:         144
        .size:           8
        .value_kind:     hidden_global_offset_x
      - .offset:         152
        .size:           8
        .value_kind:     hidden_global_offset_y
      - .offset:         160
        .size:           8
        .value_kind:     hidden_global_offset_z
      - .offset:         168
        .size:           2
        .value_kind:     hidden_grid_dims
    .group_segment_fixed_size: 0
    .kernarg_segment_align: 8
    .kernarg_segment_size: 360
    .language:       OpenCL C
    .language_version:
      - 2
      - 0
    .max_flat_workgroup_size: 256
    .name:           _ZN2at6native12_GLOBAL__N_122max_pool_backward_nchwIN3c104HalfEflEEvPKT_PKlT1_SA_SA_SA_SA_SA_iiiiiiiiPS5_
    .private_segment_fixed_size: 0
    .sgpr_count:     92
    .sgpr_spill_count: 0
    .symbol:         _ZN2at6native12_GLOBAL__N_122max_pool_backward_nchwIN3c104HalfEflEEvPKT_PKlT1_SA_SA_SA_SA_SA_iiiiiiiiPS5_.kd
    .uniform_work_group_size: 1
    .uses_dynamic_stack: false
    .vgpr_count:     38
    .vgpr_spill_count: 0
    .wavefront_size: 64
  - .agpr_count:     0
    .args:
      - .address_space:  global
        .offset:         0
        .size:           8
        .value_kind:     global_buffer
      - .address_space:  global
        .offset:         8
        .size:           8
        .value_kind:     global_buffer
      - .offset:         16
        .size:           4
        .value_kind:     by_value
      - .offset:         24
        .size:           8
        .value_kind:     by_value
      - .offset:         32
        .size:           8
        .value_kind:     by_value
      - .offset:         40
        .size:           8
        .value_kind:     by_value
      - .offset:         48
        .size:           4
        .value_kind:     by_value
      - .offset:         52
        .size:           4
        .value_kind:     by_value
      - .offset:         56
        .size:           4
        .value_kind:     by_value
      - .offset:         60
        .size:           4
        .value_kind:     by_value
      - .offset:         64
        .size:           4
        .value_kind:     by_value
      - .offset:         68
        .size:           4
        .value_kind:     by_value
      - .offset:         72
        .size:           4
        .value_kind:     by_value
      - .offset:         76
        .size:           4
        .value_kind:     by_value
      - .offset:         80
        .size:           4
        .value_kind:     by_value
      - .offset:         84
        .size:           4
        .value_kind:     by_value
      - .offset:         88
        .size:           4
        .value_kind:     by_value
      - .offset:         92
        .size:           4
        .value_kind:     by_value
      - .offset:         96
        .size:           4
        .value_kind:     by_value
      - .offset:         100
        .size:           4
        .value_kind:     by_value
      - .offset:         104
        .size:           4
        .value_kind:     by_value
      - .address_space:  global
        .offset:         112
        .size:           8
        .value_kind:     global_buffer
      - .offset:         120
        .size:           4
        .value_kind:     hidden_block_count_x
      - .offset:         124
        .size:           4
        .value_kind:     hidden_block_count_y
      - .offset:         128
        .size:           4
        .value_kind:     hidden_block_count_z
      - .offset:         132
        .size:           2
        .value_kind:     hidden_group_size_x
      - .offset:         134
        .size:           2
        .value_kind:     hidden_group_size_y
      - .offset:         136
        .size:           2
        .value_kind:     hidden_group_size_z
      - .offset:         138
        .size:           2
        .value_kind:     hidden_remainder_x
      - .offset:         140
        .size:           2
        .value_kind:     hidden_remainder_y
      - .offset:         142
        .size:           2
        .value_kind:     hidden_remainder_z
      - .offset:         160
        .size:           8
        .value_kind:     hidden_global_offset_x
      - .offset:         168
        .size:           8
        .value_kind:     hidden_global_offset_y
      - .offset:         176
        .size:           8
        .value_kind:     hidden_global_offset_z
      - .offset:         184
        .size:           2
        .value_kind:     hidden_grid_dims
      - .offset:         240
        .size:           4
        .value_kind:     hidden_dynamic_lds_size
    .group_segment_fixed_size: 0
    .kernarg_segment_align: 8
    .kernarg_segment_size: 376
    .language:       OpenCL C
    .language_version:
      - 2
      - 0
    .max_flat_workgroup_size: 256
    .name:           _ZN2at6native12_GLOBAL__N_122max_pool_backward_nhwcIN3c108BFloat16EfEEvPKT_PKlillliiiiiiiiiiiiiiiPS5_
    .private_segment_fixed_size: 0
    .sgpr_count:     72
    .sgpr_spill_count: 0
    .symbol:         _ZN2at6native12_GLOBAL__N_122max_pool_backward_nhwcIN3c108BFloat16EfEEvPKT_PKlillliiiiiiiiiiiiiiiPS5_.kd
    .uniform_work_group_size: 1
    .uses_dynamic_stack: false
    .vgpr_count:     50
    .vgpr_spill_count: 0
    .wavefront_size: 64
  - .agpr_count:     0
    .args:
      - .address_space:  global
        .offset:         0
        .size:           8
        .value_kind:     global_buffer
      - .address_space:  global
        .offset:         8
        .size:           8
        .value_kind:     global_buffer
      - .offset:         16
        .size:           4
        .value_kind:     by_value
      - .offset:         20
        .size:           4
        .value_kind:     by_value
      - .offset:         24
        .size:           4
        .value_kind:     by_value
      - .offset:         28
        .size:           4
        .value_kind:     by_value
      - .offset:         32
        .size:           4
        .value_kind:     by_value
      - .offset:         36
        .size:           4
        .value_kind:     by_value
      - .offset:         40
        .size:           4
        .value_kind:     by_value
      - .offset:         44
        .size:           4
        .value_kind:     by_value
      - .offset:         48
        .size:           4
        .value_kind:     by_value
      - .offset:         52
        .size:           4
        .value_kind:     by_value
      - .offset:         56
        .size:           4
        .value_kind:     by_value
      - .offset:         60
        .size:           4
        .value_kind:     by_value
      - .offset:         64
        .size:           4
        .value_kind:     by_value
      - .offset:         68
        .size:           4
        .value_kind:     by_value
      - .address_space:  global
        .offset:         72
        .size:           8
        .value_kind:     global_buffer
      - .offset:         80
        .size:           4
        .value_kind:     hidden_block_count_x
      - .offset:         84
        .size:           4
        .value_kind:     hidden_block_count_y
      - .offset:         88
        .size:           4
        .value_kind:     hidden_block_count_z
      - .offset:         92
        .size:           2
        .value_kind:     hidden_group_size_x
      - .offset:         94
        .size:           2
        .value_kind:     hidden_group_size_y
      - .offset:         96
        .size:           2
        .value_kind:     hidden_group_size_z
      - .offset:         98
        .size:           2
        .value_kind:     hidden_remainder_x
      - .offset:         100
        .size:           2
        .value_kind:     hidden_remainder_y
      - .offset:         102
        .size:           2
        .value_kind:     hidden_remainder_z
      - .offset:         120
        .size:           8
        .value_kind:     hidden_global_offset_x
      - .offset:         128
        .size:           8
        .value_kind:     hidden_global_offset_y
      - .offset:         136
        .size:           8
        .value_kind:     hidden_global_offset_z
      - .offset:         144
        .size:           2
        .value_kind:     hidden_grid_dims
    .group_segment_fixed_size: 0
    .kernarg_segment_align: 8
    .kernarg_segment_size: 336
    .language:       OpenCL C
    .language_version:
      - 2
      - 0
    .max_flat_workgroup_size: 256
    .name:           _ZN2at6native12_GLOBAL__N_122max_pool_backward_nchwIN3c108BFloat16EfiEEvPKT_PKlT1_SA_SA_SA_SA_SA_iiiiiiiiPS5_
    .private_segment_fixed_size: 0
    .sgpr_count:     67
    .sgpr_spill_count: 0
    .symbol:         _ZN2at6native12_GLOBAL__N_122max_pool_backward_nchwIN3c108BFloat16EfiEEvPKT_PKlT1_SA_SA_SA_SA_SA_iiiiiiiiPS5_.kd
    .uniform_work_group_size: 1
    .uses_dynamic_stack: false
    .vgpr_count:     23
    .vgpr_spill_count: 0
    .wavefront_size: 64
  - .agpr_count:     0
    .args:
      - .address_space:  global
        .offset:         0
        .size:           8
        .value_kind:     global_buffer
      - .address_space:  global
        .offset:         8
        .size:           8
        .value_kind:     global_buffer
      - .offset:         16
        .size:           8
        .value_kind:     by_value
      - .offset:         24
        .size:           8
        .value_kind:     by_value
      - .offset:         32
        .size:           8
        .value_kind:     by_value
      - .offset:         40
        .size:           8
        .value_kind:     by_value
      - .offset:         48
        .size:           8
        .value_kind:     by_value
      - .offset:         56
        .size:           8
        .value_kind:     by_value
      - .offset:         64
        .size:           4
        .value_kind:     by_value
      - .offset:         68
        .size:           4
        .value_kind:     by_value
      - .offset:         72
        .size:           4
        .value_kind:     by_value
      - .offset:         76
        .size:           4
        .value_kind:     by_value
      - .offset:         80
        .size:           4
        .value_kind:     by_value
      - .offset:         84
        .size:           4
        .value_kind:     by_value
      - .offset:         88
        .size:           4
        .value_kind:     by_value
      - .offset:         92
        .size:           4
        .value_kind:     by_value
      - .address_space:  global
        .offset:         96
        .size:           8
        .value_kind:     global_buffer
      - .offset:         104
        .size:           4
        .value_kind:     hidden_block_count_x
      - .offset:         108
        .size:           4
        .value_kind:     hidden_block_count_y
      - .offset:         112
        .size:           4
        .value_kind:     hidden_block_count_z
      - .offset:         116
        .size:           2
        .value_kind:     hidden_group_size_x
      - .offset:         118
        .size:           2
        .value_kind:     hidden_group_size_y
      - .offset:         120
        .size:           2
        .value_kind:     hidden_group_size_z
      - .offset:         122
        .size:           2
        .value_kind:     hidden_remainder_x
      - .offset:         124
        .size:           2
        .value_kind:     hidden_remainder_y
      - .offset:         126
        .size:           2
        .value_kind:     hidden_remainder_z
      - .offset:         144
        .size:           8
        .value_kind:     hidden_global_offset_x
      - .offset:         152
        .size:           8
        .value_kind:     hidden_global_offset_y
      - .offset:         160
        .size:           8
        .value_kind:     hidden_global_offset_z
      - .offset:         168
        .size:           2
        .value_kind:     hidden_grid_dims
    .group_segment_fixed_size: 0
    .kernarg_segment_align: 8
    .kernarg_segment_size: 360
    .language:       OpenCL C
    .language_version:
      - 2
      - 0
    .max_flat_workgroup_size: 256
    .name:           _ZN2at6native12_GLOBAL__N_122max_pool_backward_nchwIN3c108BFloat16EflEEvPKT_PKlT1_SA_SA_SA_SA_SA_iiiiiiiiPS5_
    .private_segment_fixed_size: 0
    .sgpr_count:     93
    .sgpr_spill_count: 0
    .symbol:         _ZN2at6native12_GLOBAL__N_122max_pool_backward_nchwIN3c108BFloat16EflEEvPKT_PKlT1_SA_SA_SA_SA_SA_iiiiiiiiPS5_.kd
    .uniform_work_group_size: 1
    .uses_dynamic_stack: false
    .vgpr_count:     40
    .vgpr_spill_count: 0
    .wavefront_size: 64
amdhsa.target:   amdgcn-amd-amdhsa--gfx90a
amdhsa.version:
  - 1
  - 2
...

	.end_amdgpu_metadata
